;; amdgpu-corpus repo=ROCm/rocFFT kind=compiled arch=gfx1030 opt=O3
	.text
	.amdgcn_target "amdgcn-amd-amdhsa--gfx1030"
	.amdhsa_code_object_version 6
	.protected	bluestein_single_back_len2400_dim1_half_op_CI_CI ; -- Begin function bluestein_single_back_len2400_dim1_half_op_CI_CI
	.globl	bluestein_single_back_len2400_dim1_half_op_CI_CI
	.p2align	8
	.type	bluestein_single_back_len2400_dim1_half_op_CI_CI,@function
bluestein_single_back_len2400_dim1_half_op_CI_CI: ; @bluestein_single_back_len2400_dim1_half_op_CI_CI
; %bb.0:
	s_load_dwordx4 s[8:11], s[4:5], 0x28
	v_mul_u32_u24_e32 v1, 0x112, v0
	v_mov_b32_e32 v33, 0
	s_mov_b32 s0, exec_lo
	v_lshrrev_b32_e32 v1, 16, v1
	v_add_nc_u32_e32 v32, s6, v1
	s_waitcnt lgkmcnt(0)
	v_cmpx_gt_u64_e64 s[8:9], v[32:33]
	s_cbranch_execz .LBB0_25
; %bb.1:
	s_load_dwordx4 s[0:3], s[4:5], 0x18
	v_mul_lo_u16 v1, 0xf0, v1
	s_waitcnt lgkmcnt(0)
	s_load_dwordx4 s[12:15], s[0:1], 0x0
	s_load_dwordx2 s[0:1], s[4:5], 0x0
	v_sub_nc_u16 v9, v0, v1
	v_and_b32_e32 v48, 0xffff, v9
	v_lshlrev_b32_e32 v41, 2, v48
	s_waitcnt lgkmcnt(0)
	s_clause 0x1
	global_load_dword v49, v41, s[0:1]
	global_load_dword v45, v41, s[0:1] offset:960
	v_mad_u64_u32 v[0:1], null, s14, v32, 0
	v_mad_u64_u32 v[2:3], null, s12, v48, 0
	v_add_co_u32 v28, s6, s0, v41
	v_add_co_ci_u32_e64 v29, null, s1, 0, s6
	s_mul_i32 s1, s13, 0x258
	v_add_co_u32 v4, vcc_lo, 0x800, v28
	v_mad_u64_u32 v[6:7], null, s15, v32, v[1:2]
	v_mov_b32_e32 v1, v3
	v_add_co_ci_u32_e32 v5, vcc_lo, 0, v29, vcc_lo
	v_add_co_u32 v30, vcc_lo, 0x1000, v28
	v_mad_u64_u32 v[7:8], null, s13, v48, v[1:2]
	v_mov_b32_e32 v1, v6
	v_add_co_ci_u32_e32 v31, vcc_lo, 0, v29, vcc_lo
	v_add_co_u32 v26, vcc_lo, 0x1800, v28
	v_lshlrev_b64 v[0:1], 2, v[0:1]
	v_mov_b32_e32 v3, v7
	v_add_co_ci_u32_e32 v27, vcc_lo, 0, v29, vcc_lo
	s_mul_hi_u32 s6, s12, 0x258
	s_mul_i32 s0, s12, 0x258
	v_lshlrev_b64 v[2:3], 2, v[2:3]
	v_add_co_u32 v0, vcc_lo, s10, v0
	v_add_co_ci_u32_e32 v1, vcc_lo, s11, v1, vcc_lo
	s_add_i32 s1, s6, s1
	v_add_co_u32 v0, vcc_lo, v0, v2
	v_add_co_ci_u32_e32 v1, vcc_lo, v1, v3, vcc_lo
	s_lshl_b64 s[14:15], s[0:1], 2
	s_clause 0x1
	global_load_dword v50, v[4:5], off offset:352
	global_load_dword v47, v[30:31], off offset:704
	s_mul_hi_u32 s8, s12, 0xfffff9e8
	global_load_dword v6, v[0:1], off
	v_add_co_u32 v0, vcc_lo, v0, s14
	v_add_co_ci_u32_e32 v1, vcc_lo, s15, v1, vcc_lo
	s_mul_i32 s7, s13, 0xfffff9e8
	v_add_co_u32 v2, vcc_lo, v0, s14
	v_add_co_ci_u32_e32 v3, vcc_lo, s15, v1, vcc_lo
	global_load_dword v7, v[0:1], off
	v_add_co_u32 v0, vcc_lo, v2, s14
	s_sub_i32 s0, s8, s12
	v_add_co_ci_u32_e32 v1, vcc_lo, s15, v3, vcc_lo
	s_mul_i32 s6, s12, 0xfffff9e8
	s_add_i32 s7, s0, s7
	global_load_dword v8, v[2:3], off
	global_load_dword v46, v[26:27], off offset:1056
	s_lshl_b64 s[12:13], s[6:7], 2
	global_load_dword v10, v[0:1], off
	v_add_co_u32 v0, vcc_lo, v0, s12
	v_add_co_ci_u32_e32 v1, vcc_lo, s13, v1, vcc_lo
	global_load_dword v44, v[4:5], off offset:1312
	v_add_co_u32 v2, vcc_lo, v0, s14
	v_add_co_ci_u32_e32 v3, vcc_lo, s15, v1, vcc_lo
	global_load_dword v11, v[0:1], off
	v_add_co_u32 v4, vcc_lo, v2, s14
	v_add_co_ci_u32_e32 v5, vcc_lo, s15, v3, vcc_lo
	global_load_dword v2, v[2:3], off
	;; [unrolled: 3-line block ×3, first 2 shown]
	global_load_dword v4, v[0:1], off
	s_clause 0x1
	global_load_dword v42, v[26:27], off offset:2016
	global_load_dword v43, v[30:31], off offset:1664
	s_load_dwordx2 s[6:7], s[4:5], 0x38
	s_load_dwordx4 s[8:11], s[2:3], 0x0
	v_cmp_lt_u16_e64 s0, 0x77, v9
	v_cmp_gt_u16_e32 vcc_lo, 0x78, v9
	s_waitcnt vmcnt(11)
	v_lshrrev_b32_e32 v5, 16, v6
	v_mul_f16_sdwa v12, v49, v6 dst_sel:DWORD dst_unused:UNUSED_PAD src0_sel:WORD_1 src1_sel:DWORD
	v_mul_f16_sdwa v13, v49, v5 dst_sel:DWORD dst_unused:UNUSED_PAD src0_sel:WORD_1 src1_sel:DWORD
	v_fma_f16 v5, v49, v5, -v12
	s_waitcnt vmcnt(10)
	v_lshrrev_b32_e32 v14, 16, v7
	v_mul_f16_sdwa v15, v50, v7 dst_sel:DWORD dst_unused:UNUSED_PAD src0_sel:WORD_1 src1_sel:DWORD
	v_fmac_f16_e32 v13, v49, v6
	v_mul_f16_sdwa v6, v50, v14 dst_sel:DWORD dst_unused:UNUSED_PAD src0_sel:WORD_1 src1_sel:DWORD
	v_fma_f16 v14, v50, v14, -v15
	s_waitcnt vmcnt(9)
	v_lshrrev_b32_e32 v12, 16, v8
	v_mul_f16_sdwa v15, v47, v8 dst_sel:DWORD dst_unused:UNUSED_PAD src0_sel:WORD_1 src1_sel:DWORD
	v_pack_b32_f16 v5, v13, v5
	v_fmac_f16_e32 v6, v50, v7
	s_waitcnt vmcnt(7)
	v_lshrrev_b32_e32 v13, 16, v10
	v_mul_f16_sdwa v7, v47, v12 dst_sel:DWORD dst_unused:UNUSED_PAD src0_sel:WORD_1 src1_sel:DWORD
	v_mul_f16_sdwa v16, v46, v10 dst_sel:DWORD dst_unused:UNUSED_PAD src0_sel:WORD_1 src1_sel:DWORD
	v_fma_f16 v12, v47, v12, -v15
	v_pack_b32_f16 v6, v6, v14
	v_fmac_f16_e32 v7, v47, v8
	v_mul_f16_sdwa v8, v46, v13 dst_sel:DWORD dst_unused:UNUSED_PAD src0_sel:WORD_1 src1_sel:DWORD
	v_fma_f16 v13, v46, v13, -v16
	s_waitcnt vmcnt(5)
	v_lshrrev_b32_e32 v14, 16, v11
	v_mul_f16_sdwa v15, v45, v11 dst_sel:DWORD dst_unused:UNUSED_PAD src0_sel:WORD_1 src1_sel:DWORD
	ds_write_b32 v41, v6 offset:2400
	v_pack_b32_f16 v6, v7, v12
	v_fmac_f16_e32 v8, v46, v10
	v_mul_f16_sdwa v7, v45, v14 dst_sel:DWORD dst_unused:UNUSED_PAD src0_sel:WORD_1 src1_sel:DWORD
	s_waitcnt vmcnt(4)
	v_lshrrev_b32_e32 v12, 16, v2
	v_fma_f16 v10, v45, v14, -v15
	v_mul_f16_sdwa v14, v44, v2 dst_sel:DWORD dst_unused:UNUSED_PAD src0_sel:WORD_1 src1_sel:DWORD
	ds_write_b32 v41, v6 offset:4800
	v_pack_b32_f16 v6, v8, v13
	s_waitcnt vmcnt(3)
	v_lshrrev_b32_e32 v8, 16, v3
	s_waitcnt vmcnt(2)
	v_lshrrev_b32_e32 v13, 16, v4
	v_fmac_f16_e32 v7, v45, v11
	v_mul_f16_sdwa v11, v44, v12 dst_sel:DWORD dst_unused:UNUSED_PAD src0_sel:WORD_1 src1_sel:DWORD
	v_fma_f16 v12, v44, v12, -v14
	s_waitcnt vmcnt(0)
	v_mul_f16_sdwa v14, v43, v3 dst_sel:DWORD dst_unused:UNUSED_PAD src0_sel:WORD_1 src1_sel:DWORD
	v_mul_f16_sdwa v15, v43, v8 dst_sel:DWORD dst_unused:UNUSED_PAD src0_sel:WORD_1 src1_sel:DWORD
	;; [unrolled: 1-line block ×4, first 2 shown]
	v_fmac_f16_e32 v11, v44, v2
	v_fma_f16 v2, v43, v8, -v14
	v_fmac_f16_e32 v15, v43, v3
	v_fma_f16 v3, v42, v13, -v16
	v_fmac_f16_e32 v17, v42, v4
	v_pack_b32_f16 v4, v7, v10
	ds_write_b32 v41, v6 offset:7200
	v_pack_b32_f16 v6, v11, v12
	v_pack_b32_f16 v2, v15, v2
	;; [unrolled: 1-line block ×3, first 2 shown]
	ds_write2_b32 v41, v5, v4 offset1:240
	ds_write_b32 v41, v6 offset:3360
	ds_write_b32 v41, v2 offset:5760
	;; [unrolled: 1-line block ×3, first 2 shown]
	s_and_saveexec_b32 s2, vcc_lo
	s_cbranch_execz .LBB0_3
; %bb.2:
	v_add_co_u32 v0, s1, v0, s12
	v_add_co_ci_u32_e64 v1, s1, s13, v1, s1
	global_load_dword v6, v[28:29], off offset:1920
	v_add_co_u32 v2, s1, v0, s14
	v_add_co_ci_u32_e64 v3, s1, s15, v1, s1
	global_load_dword v7, v[0:1], off
	v_add_co_u32 v4, s1, v2, s14
	v_add_co_ci_u32_e64 v5, s1, s15, v3, s1
	v_add_co_u32 v0, s1, v4, s14
	v_add_co_ci_u32_e64 v1, s1, s15, v5, s1
	global_load_dword v2, v[2:3], off
	global_load_dword v3, v[30:31], off offset:224
	global_load_dword v4, v[4:5], off
	global_load_dword v5, v[0:1], off
	v_add_co_u32 v0, s1, 0x2000, v28
	v_add_co_ci_u32_e64 v1, s1, 0, v29, s1
	s_clause 0x1
	global_load_dword v8, v[26:27], off offset:576
	global_load_dword v0, v[0:1], off offset:928
	s_waitcnt vmcnt(6)
	v_lshrrev_b32_e32 v1, 16, v7
	v_mul_f16_sdwa v9, v6, v7 dst_sel:DWORD dst_unused:UNUSED_PAD src0_sel:WORD_1 src1_sel:DWORD
	v_mul_f16_sdwa v10, v6, v1 dst_sel:DWORD dst_unused:UNUSED_PAD src0_sel:WORD_1 src1_sel:DWORD
	v_fma_f16 v1, v6, v1, -v9
	s_waitcnt vmcnt(5)
	v_lshrrev_b32_e32 v9, 16, v2
	s_waitcnt vmcnt(4)
	v_mul_f16_sdwa v11, v3, v2 dst_sel:DWORD dst_unused:UNUSED_PAD src0_sel:WORD_1 src1_sel:DWORD
	v_fmac_f16_e32 v10, v6, v7
	s_waitcnt vmcnt(3)
	v_lshrrev_b32_e32 v6, 16, v4
	s_waitcnt vmcnt(2)
	v_lshrrev_b32_e32 v7, 16, v5
	v_mul_f16_sdwa v12, v3, v9 dst_sel:DWORD dst_unused:UNUSED_PAD src0_sel:WORD_1 src1_sel:DWORD
	v_fma_f16 v9, v3, v9, -v11
	v_pack_b32_f16 v1, v10, v1
	s_waitcnt vmcnt(1)
	v_mul_f16_sdwa v11, v8, v4 dst_sel:DWORD dst_unused:UNUSED_PAD src0_sel:WORD_1 src1_sel:DWORD
	v_mul_f16_sdwa v13, v8, v6 dst_sel:DWORD dst_unused:UNUSED_PAD src0_sel:WORD_1 src1_sel:DWORD
	s_waitcnt vmcnt(0)
	v_mul_f16_sdwa v14, v0, v7 dst_sel:DWORD dst_unused:UNUSED_PAD src0_sel:WORD_1 src1_sel:DWORD
	v_mul_f16_sdwa v15, v0, v5 dst_sel:DWORD dst_unused:UNUSED_PAD src0_sel:WORD_1 src1_sel:DWORD
	v_fmac_f16_e32 v12, v3, v2
	v_fma_f16 v2, v8, v6, -v11
	v_fmac_f16_e32 v13, v8, v4
	v_fmac_f16_e32 v14, v0, v5
	v_fma_f16 v0, v0, v7, -v15
	v_pack_b32_f16 v3, v12, v9
	v_pack_b32_f16 v2, v13, v2
	;; [unrolled: 1-line block ×3, first 2 shown]
	ds_write_b32 v41, v1 offset:1920
	ds_write_b32 v41, v3 offset:4320
	;; [unrolled: 1-line block ×4, first 2 shown]
.LBB0_3:
	s_or_b32 exec_lo, exec_lo, s2
	v_add_nc_u32_e32 v2, 0x940, v41
	v_add_nc_u32_e32 v4, 0x12c0, v41
	;; [unrolled: 1-line block ×3, first 2 shown]
	s_waitcnt lgkmcnt(0)
	s_barrier
	buffer_gl0_inv
	ds_read2_b32 v[0:1], v41 offset1:240
	ds_read2_b32 v[2:3], v2 offset0:8 offset1:248
	ds_read2_b32 v[6:7], v4 offset1:240
	ds_read2_b32 v[4:5], v5 offset0:8 offset1:248
                                        ; implicit-def: $vgpr8
                                        ; implicit-def: $vgpr10
                                        ; implicit-def: $vgpr9
                                        ; implicit-def: $vgpr11
	s_and_saveexec_b32 s1, vcc_lo
	s_cbranch_execz .LBB0_5
; %bb.4:
	ds_read_b32 v8, v41 offset:1920
	ds_read_b32 v9, v41 offset:4320
	;; [unrolled: 1-line block ×4, first 2 shown]
.LBB0_5:
	s_or_b32 exec_lo, exec_lo, s1
	s_waitcnt lgkmcnt(1)
	v_pk_add_f16 v14, v1, v7 neg_lo:[0,1] neg_hi:[0,1]
	v_pk_add_f16 v12, v0, v6 neg_lo:[0,1] neg_hi:[0,1]
	s_waitcnt lgkmcnt(0)
	v_pk_add_f16 v17, v3, v5 neg_lo:[0,1] neg_hi:[0,1]
	v_pk_add_f16 v13, v2, v4 neg_lo:[0,1] neg_hi:[0,1]
	;; [unrolled: 1-line block ×3, first 2 shown]
	v_lshrrev_b32_e32 v5, 16, v14
	v_lshrrev_b32_e32 v7, 16, v12
	v_pk_add_f16 v11, v9, v11 neg_lo:[0,1] neg_hi:[0,1]
	v_sub_f16_sdwa v15, v12, v13 dst_sel:DWORD dst_unused:UNUSED_PAD src0_sel:DWORD src1_sel:WORD_1
	v_sub_f16_sdwa v20, v14, v17 dst_sel:DWORD dst_unused:UNUSED_PAD src0_sel:DWORD src1_sel:WORD_1
	v_add_f16_e32 v21, v5, v17
	v_add_f16_e32 v18, v7, v13
	v_pk_fma_f16 v1, v1, 2.0, v14 op_sel_hi:[1,0,1] neg_lo:[0,0,1] neg_hi:[0,0,1]
	v_pk_fma_f16 v3, v3, 2.0, v17 op_sel_hi:[1,0,1] neg_lo:[0,0,1] neg_hi:[0,0,1]
	v_add_co_u32 v16, null, 0xf0, v48
	v_fma_f16 v24, v5, 2.0, -v21
	v_pk_fma_f16 v5, v8, 2.0, v6 op_sel_hi:[1,0,1] neg_lo:[0,0,1] neg_hi:[0,0,1]
	v_pk_fma_f16 v8, v0, 2.0, v12 op_sel_hi:[1,0,1] neg_lo:[0,0,1] neg_hi:[0,0,1]
	;; [unrolled: 1-line block ×3, first 2 shown]
	v_fma_f16 v19, v12, 2.0, -v15
	v_fma_f16 v22, v7, 2.0, -v18
	v_pk_fma_f16 v7, v9, 2.0, v11 op_sel_hi:[1,0,1] neg_lo:[0,0,1] neg_hi:[0,0,1]
	v_lshlrev_b16 v2, 2, v48
	v_mov_b32_e32 v9, 2
	v_pk_add_f16 v10, v8, v0 neg_lo:[0,1] neg_hi:[0,1]
	v_pk_add_f16 v0, v6, v11 op_sel:[0,1] op_sel_hi:[1,0]
	v_fma_f16 v23, v14, 2.0, -v20
	v_pk_add_f16 v14, v1, v3 neg_lo:[0,1] neg_hi:[0,1]
	v_add_co_u32 v4, null, 0x1e0, v48
	v_pk_add_f16 v33, v6, v11 op_sel:[0,1] op_sel_hi:[1,0] neg_lo:[0,1] neg_hi:[0,1]
	v_lshlrev_b32_sdwa v53, v9, v2 dst_sel:DWORD dst_unused:UNUSED_PAD src0_sel:DWORD src1_sel:WORD_0
	v_pk_fma_f16 v8, v8, 2.0, v10 op_sel_hi:[1,0,1] neg_lo:[0,0,1] neg_hi:[0,0,1]
	v_pack_b32_f16 v11, v15, v18
	v_pack_b32_f16 v9, v19, v22
	v_lshlrev_b32_e32 v54, 4, v16
	v_lshrrev_b32_e32 v34, 16, v0
	v_pk_fma_f16 v12, v1, 2.0, v14 op_sel_hi:[1,0,1] neg_lo:[0,0,1] neg_hi:[0,0,1]
	v_pack_b32_f16 v15, v20, v21
	v_pack_b32_f16 v13, v23, v24
	s_barrier
	buffer_gl0_inv
	ds_write_b128 v53, v[8:11]
	ds_write_b128 v54, v[12:15]
	s_and_saveexec_b32 s1, s0
	s_xor_b32 s0, exec_lo, s1
; %bb.6:
                                        ; implicit-def: $vgpr0
                                        ; implicit-def: $vgpr6
; %bb.7:
	s_or_saveexec_b32 s0, s0
	s_load_dwordx2 s[2:3], s[4:5], 0x8
	v_pk_add_f16 v24, v5, v7 neg_lo:[0,1] neg_hi:[0,1]
	v_lshlrev_b32_e32 v55, 4, v4
	s_xor_b32 exec_lo, exec_lo, s0
	s_cbranch_execz .LBB0_9
; %bb.8:
	v_bfi_b32 v25, 0xffff, v33, v0
	v_pk_fma_f16 v22, v5, 2.0, v24 op_sel_hi:[1,0,1] neg_lo:[0,0,1] neg_hi:[0,0,1]
	v_pk_fma_f16 v23, v6, 2.0, v25 op_sel_hi:[1,0,1] neg_lo:[0,0,1] neg_hi:[0,0,1]
	ds_write_b128 v55, v[22:25]
.LBB0_9:
	s_or_b32 exec_lo, exec_lo, s0
	v_and_b32_e32 v23, 3, v48
	s_waitcnt lgkmcnt(0)
	s_barrier
	buffer_gl0_inv
	v_add_nc_u32_e32 v19, 0x780, v41
	v_mad_u64_u32 v[8:9], null, v23, 36, s[2:3]
	v_add_nc_u32_e32 v20, 0xf00, v41
	v_add_nc_u32_e32 v18, 0x1e00, v41
	v_and_b32_e32 v21, 0xff, v48
	v_lshrrev_b32_e32 v22, 2, v48
	v_add_nc_u32_e32 v17, 0x1680, v41
	v_cmp_gt_u16_e64 s0, 0xa0, v48
	s_clause 0x2
	global_load_dwordx4 v[4:7], v[8:9], off
	global_load_dwordx4 v[0:3], v[8:9], off offset:16
	global_load_dword v52, v[8:9], off offset:32
	ds_read2_b32 v[8:9], v41 offset1:240
	ds_read2_b32 v[10:11], v19 offset1:240
	;; [unrolled: 1-line block ×4, first 2 shown]
	v_mul_lo_u16 v25, 0xcd, v21
	v_mul_u32_u24_e32 v35, 40, v22
	ds_read2_b32 v[21:22], v18 offset1:240
	s_waitcnt vmcnt(0) lgkmcnt(0)
	s_barrier
	v_lshrrev_b16 v25, 13, v25
	v_or_b32_e32 v23, v35, v23
	buffer_gl0_inv
	v_mul_lo_u16 v35, v25, 40
	v_lshlrev_b32_e32 v51, 2, v23
	v_sub_nc_u16 v35, v48, v35
	v_lshrrev_b32_e32 v37, 16, v9
	v_lshrrev_b32_e32 v38, 16, v10
	;; [unrolled: 1-line block ×10, first 2 shown]
	v_and_b32_e32 v58, 0xff, v35
	v_mad_u64_u32 v[35:36], null, v58, 36, s[2:3]
	v_mul_f16_sdwa v62, v37, v4 dst_sel:DWORD dst_unused:UNUSED_PAD src0_sel:DWORD src1_sel:WORD_1
	v_mul_f16_sdwa v63, v9, v4 dst_sel:DWORD dst_unused:UNUSED_PAD src0_sel:DWORD src1_sel:WORD_1
	;; [unrolled: 1-line block ×18, first 2 shown]
	v_fma_f16 v9, v9, v4, -v62
	v_fmac_f16_e32 v63, v37, v4
	v_fma_f16 v10, v10, v5, -v64
	v_fmac_f16_e32 v65, v38, v5
	;; [unrolled: 2-line block ×9, first 2 shown]
	v_add_f16_e32 v37, v8, v10
	v_add_f16_e32 v38, v12, v14
	v_sub_f16_e32 v56, v10, v12
	v_sub_f16_e32 v57, v21, v14
	v_add_f16_e32 v59, v10, v21
	v_sub_f16_e32 v60, v12, v10
	v_sub_f16_e32 v61, v14, v21
	v_add_f16_e32 v62, v23, v65
	v_add_f16_e32 v64, v69, v73
	v_sub_f16_e32 v68, v65, v69
	v_sub_f16_e32 v70, v77, v73
	v_add_f16_e32 v76, v9, v11
	v_add_f16_e32 v78, v13, v15
	;; [unrolled: 1-line block ×6, first 2 shown]
	v_sub_f16_e32 v39, v65, v77
	v_sub_f16_e32 v40, v69, v73
	v_sub_f16_e32 v66, v12, v14
	v_add_f16_e32 v72, v65, v77
	v_sub_f16_e32 v65, v69, v65
	v_sub_f16_e32 v80, v67, v79
	;; [unrolled: 1-line block ×6, first 2 shown]
	v_add_f16_e32 v12, v37, v12
	v_add_f16_e32 v37, v56, v57
	v_fma_f16 v38, -0.5, v38, v8
	v_fmac_f16_e32 v8, -0.5, v59
	v_add_f16_e32 v56, v60, v61
	v_add_f16_e32 v57, v62, v69
	v_add_f16_e32 v59, v68, v70
	v_fma_f16 v60, -0.5, v64, v23
	v_fma_f16 v64, -0.5, v78, v9
	v_add_f16_e32 v68, v87, v71
	v_add_f16_e32 v13, v76, v13
	v_fma_f16 v69, -0.5, v88, v63
	v_sub_f16_e32 v74, v73, v77
	v_sub_f16_e32 v81, v71, v75
	v_fmac_f16_e32 v9, -0.5, v84
	v_fmac_f16_e32 v63, -0.5, v91
	v_sub_f16_e32 v83, v22, v15
	v_sub_f16_e32 v86, v15, v22
	;; [unrolled: 1-line block ×5, first 2 shown]
	v_fmac_f16_e32 v23, -0.5, v72
	v_add_f16_e32 v13, v13, v15
	v_fmamk_f16 v15, v80, 0x3b9c, v64
	v_add_f16_e32 v68, v68, v75
	v_fmamk_f16 v75, v11, 0xbb9c, v69
	v_sub_f16_e32 v67, v71, v67
	v_add_f16_e32 v61, v65, v74
	v_fmamk_f16 v74, v81, 0xbb9c, v9
	v_fmac_f16_e32 v9, 0x3b9c, v81
	v_fmamk_f16 v76, v93, 0x3b9c, v63
	v_fmac_f16_e32 v63, 0xbb9c, v93
	v_sub_f16_e32 v10, v10, v21
	v_fmac_f16_e32 v64, 0xbb9c, v80
	v_fmac_f16_e32 v69, 0x3b9c, v11
	v_add_f16_e32 v62, v82, v83
	v_add_f16_e32 v70, v89, v90
	;; [unrolled: 1-line block ×4, first 2 shown]
	v_fmamk_f16 v73, v66, 0x3b9c, v23
	v_fmac_f16_e32 v23, 0xbb9c, v66
	v_fmac_f16_e32 v15, 0x38b4, v81
	;; [unrolled: 1-line block ×3, first 2 shown]
	v_add_f16_e32 v65, v85, v86
	v_add_f16_e32 v67, v67, v92
	v_fmamk_f16 v14, v39, 0x3b9c, v38
	v_fmac_f16_e32 v38, 0xbb9c, v39
	v_fmamk_f16 v71, v40, 0xbb9c, v8
	v_fmac_f16_e32 v8, 0x3b9c, v40
	v_fmac_f16_e32 v74, 0x38b4, v80
	;; [unrolled: 1-line block ×5, first 2 shown]
	v_fmamk_f16 v72, v10, 0xbb9c, v60
	v_fmac_f16_e32 v60, 0x3b9c, v10
	v_fmac_f16_e32 v64, 0xb8b4, v81
	;; [unrolled: 1-line block ×3, first 2 shown]
	v_add_f16_e32 v12, v12, v21
	v_add_f16_e32 v21, v57, v77
	v_fmac_f16_e32 v73, 0xb8b4, v10
	v_fmac_f16_e32 v23, 0x38b4, v10
	v_add_f16_e32 v10, v13, v22
	v_add_f16_e32 v13, v68, v79
	v_fmac_f16_e32 v15, 0x34f2, v62
	v_fmac_f16_e32 v75, 0x34f2, v70
	v_fmac_f16_e32 v14, 0x38b4, v40
	v_fmac_f16_e32 v38, 0xb8b4, v40
	v_fmac_f16_e32 v71, 0x38b4, v39
	v_fmac_f16_e32 v8, 0xb8b4, v39
	v_fmac_f16_e32 v74, 0x34f2, v65
	v_fmac_f16_e32 v9, 0x34f2, v65
	v_fmac_f16_e32 v76, 0x34f2, v67
	v_fmac_f16_e32 v63, 0x34f2, v67
	v_fmac_f16_e32 v72, 0xb8b4, v66
	v_fmac_f16_e32 v60, 0x38b4, v66
	v_fmac_f16_e32 v64, 0x34f2, v62
	v_fmac_f16_e32 v69, 0x34f2, v70
	v_add_f16_e32 v11, v12, v10
	v_add_f16_e32 v22, v21, v13
	v_sub_f16_e32 v10, v12, v10
	v_sub_f16_e32 v12, v21, v13
	v_mul_f16_e32 v13, 0x38b4, v75
	v_mul_f16_e32 v40, 0xb8b4, v15
	v_fmac_f16_e32 v14, 0x34f2, v37
	v_fmac_f16_e32 v38, 0x34f2, v37
	;; [unrolled: 1-line block ×4, first 2 shown]
	v_mul_f16_e32 v21, 0x3b9c, v76
	v_mul_f16_e32 v37, 0x34f2, v9
	;; [unrolled: 1-line block ×4, first 2 shown]
	v_fmac_f16_e32 v72, 0x34f2, v59
	v_fmac_f16_e32 v60, 0x34f2, v59
	v_mul_f16_e32 v39, 0x3a79, v64
	v_mul_f16_e32 v59, 0x3a79, v69
	v_fmac_f16_e32 v13, 0x3a79, v15
	v_fmac_f16_e32 v40, 0x3a79, v75
	;; [unrolled: 1-line block ×4, first 2 shown]
	v_pack_b32_f16 v10, v10, v12
	v_fmac_f16_e32 v21, 0x34f2, v74
	v_fma_f16 v12, v63, 0x3b9c, -v37
	v_fmac_f16_e32 v56, 0x34f2, v76
	v_fma_f16 v9, v9, 0xbb9c, -v57
	v_pack_b32_f16 v11, v11, v22
	v_fma_f16 v15, v69, 0x38b4, -v39
	v_fma_f16 v22, v64, 0xb8b4, -v59
	v_add_f16_e32 v37, v14, v13
	v_add_f16_e32 v61, v72, v40
	;; [unrolled: 1-line block ×8, first 2 shown]
	v_sub_f16_e32 v13, v14, v13
	v_sub_f16_e32 v14, v71, v21
	;; [unrolled: 1-line block ×8, first 2 shown]
	v_pack_b32_f16 v23, v37, v61
	v_pack_b32_f16 v37, v39, v62
	;; [unrolled: 1-line block ×8, first 2 shown]
	ds_write2_b32 v51, v11, v23 offset1:4
	ds_write2_b32 v51, v37, v38 offset0:8 offset1:12
	ds_write2_b32 v51, v39, v10 offset0:16 offset1:20
	ds_write2_b32 v51, v13, v14 offset0:24 offset1:28
	ds_write2_b32 v51, v8, v9 offset0:32 offset1:36
	s_waitcnt lgkmcnt(0)
	s_barrier
	buffer_gl0_inv
	s_clause 0x2
	global_load_dwordx4 v[12:15], v[35:36], off offset:144
	global_load_dwordx4 v[8:11], v[35:36], off offset:160
	global_load_dword v57, v[35:36], off offset:176
	ds_read2_b32 v[21:22], v41 offset1:240
	ds_read2_b32 v[35:36], v19 offset1:240
	;; [unrolled: 1-line block ×5, first 2 shown]
	v_mov_b32_e32 v23, 0x190
	s_waitcnt vmcnt(0) lgkmcnt(0)
	s_barrier
	buffer_gl0_inv
	v_mul_u32_u24_sdwa v23, v25, v23 dst_sel:DWORD dst_unused:UNUSED_PAD src0_sel:WORD_0 src1_sel:DWORD
	v_add_lshl_u32 v56, v23, v58, 2
	v_add_nc_u32_e32 v23, 0x200, v56
	v_lshrrev_b32_e32 v25, 16, v22
	v_lshrrev_b32_e32 v39, 16, v35
	;; [unrolled: 1-line block ×10, first 2 shown]
	v_add_nc_u32_e32 v58, 0x400, v56
	v_mul_f16_sdwa v67, v22, v12 dst_sel:DWORD dst_unused:UNUSED_PAD src0_sel:DWORD src1_sel:WORD_1
	v_mul_f16_sdwa v68, v39, v13 dst_sel:DWORD dst_unused:UNUSED_PAD src0_sel:DWORD src1_sel:WORD_1
	;; [unrolled: 1-line block ×18, first 2 shown]
	v_fmac_f16_e32 v67, v25, v12
	v_fma_f16 v25, v35, v13, -v68
	v_fmac_f16_e32 v69, v39, v13
	v_fma_f16 v35, v36, v14, -v70
	v_fma_f16 v19, v19, v15, -v72
	v_fmac_f16_e32 v73, v60, v15
	v_fma_f16 v20, v20, v8, -v74
	v_fmac_f16_e32 v75, v61, v8
	;; [unrolled: 2-line block ×5, first 2 shown]
	v_fmac_f16_e32 v71, v59, v14
	v_fma_f16 v18, v18, v57, -v82
	v_fmac_f16_e32 v83, v65, v57
	v_fma_f16 v22, v22, v12, -v66
	v_add_f16_e32 v39, v19, v36
	v_sub_f16_e32 v59, v25, v19
	v_sub_f16_e32 v60, v17, v36
	v_add_f16_e32 v61, v25, v17
	v_sub_f16_e32 v62, v19, v25
	v_sub_f16_e32 v63, v36, v17
	;; [unrolled: 1-line block ×6, first 2 shown]
	v_add_f16_e32 v78, v20, v37
	v_add_f16_e32 v87, v75, v79
	;; [unrolled: 1-line block ×8, first 2 shown]
	v_sub_f16_e32 v80, v35, v20
	v_sub_f16_e32 v85, v20, v35
	v_sub_f16_e32 v88, v71, v75
	v_sub_f16_e32 v92, v75, v71
	v_sub_f16_e32 v71, v71, v83
	v_sub_f16_e32 v35, v35, v18
	v_add_f16_e32 v59, v59, v60
	v_fma_f16 v39, -0.5, v39, v21
	v_fmac_f16_e32 v21, -0.5, v61
	v_add_f16_e32 v60, v62, v63
	v_add_f16_e32 v61, v66, v68
	;; [unrolled: 1-line block ×3, first 2 shown]
	v_fma_f16 v66, -0.5, v78, v22
	v_fma_f16 v72, -0.5, v87, v67
	v_add_f16_e32 v65, v73, v77
	v_add_f16_e32 v70, v69, v81
	v_sub_f16_e32 v94, v19, v36
	v_sub_f16_e32 v95, v73, v77
	;; [unrolled: 1-line block ×4, first 2 shown]
	v_fmac_f16_e32 v22, -0.5, v84
	v_fmac_f16_e32 v67, -0.5, v90
	v_add_f16_e32 v19, v38, v19
	v_add_f16_e32 v38, v64, v73
	v_add_f16_e32 v73, v91, v75
	v_sub_f16_e32 v82, v18, v37
	v_sub_f16_e32 v89, v83, v79
	v_add_f16_e32 v20, v76, v20
	v_fmamk_f16 v76, v71, 0x3b9c, v66
	v_fmamk_f16 v78, v35, 0xbb9c, v72
	v_sub_f16_e32 v86, v37, v18
	v_sub_f16_e32 v93, v79, v83
	;; [unrolled: 1-line block ×3, first 2 shown]
	v_fma_f16 v62, -0.5, v65, v40
	v_fmac_f16_e32 v40, -0.5, v70
	v_add_f16_e32 v19, v19, v36
	v_add_f16_e32 v36, v38, v77
	;; [unrolled: 1-line block ×3, first 2 shown]
	v_fmamk_f16 v77, v96, 0xbb9c, v22
	v_fmac_f16_e32 v22, 0x3b9c, v96
	v_fmamk_f16 v79, v97, 0x3b9c, v67
	v_fmac_f16_e32 v67, 0xbb9c, v97
	v_sub_f16_e32 v69, v69, v81
	v_fmac_f16_e32 v66, 0xbb9c, v71
	v_fmac_f16_e32 v72, 0x3b9c, v35
	v_add_f16_e32 v65, v80, v82
	v_add_f16_e32 v70, v88, v89
	;; [unrolled: 1-line block ×3, first 2 shown]
	v_fmamk_f16 v37, v95, 0xbb9c, v21
	v_fmac_f16_e32 v21, 0x3b9c, v95
	v_fmac_f16_e32 v76, 0x38b4, v96
	;; [unrolled: 1-line block ×3, first 2 shown]
	v_add_f16_e32 v68, v85, v86
	v_add_f16_e32 v64, v92, v93
	v_fmamk_f16 v74, v25, 0xbb9c, v62
	v_fmac_f16_e32 v62, 0x3b9c, v25
	v_fmamk_f16 v75, v94, 0x3b9c, v40
	v_fmac_f16_e32 v40, 0xbb9c, v94
	v_fmac_f16_e32 v77, 0x38b4, v71
	;; [unrolled: 1-line block ×5, first 2 shown]
	v_fmamk_f16 v38, v69, 0x3b9c, v39
	v_fmac_f16_e32 v39, 0xbb9c, v69
	v_fmac_f16_e32 v66, 0xb8b4, v96
	;; [unrolled: 1-line block ×3, first 2 shown]
	v_add_f16_e32 v17, v19, v17
	v_fmac_f16_e32 v37, 0x38b4, v69
	v_fmac_f16_e32 v21, 0xb8b4, v69
	v_add_f16_e32 v19, v36, v81
	v_add_f16_e32 v18, v20, v18
	;; [unrolled: 1-line block ×3, first 2 shown]
	v_fmac_f16_e32 v76, 0x34f2, v65
	v_fmac_f16_e32 v78, 0x34f2, v70
	;; [unrolled: 1-line block ×16, first 2 shown]
	v_add_f16_e32 v25, v17, v18
	v_add_f16_e32 v35, v19, v20
	v_sub_f16_e32 v17, v17, v18
	v_sub_f16_e32 v18, v19, v20
	v_mul_f16_e32 v19, 0x38b4, v78
	v_mul_f16_e32 v60, 0xb8b4, v76
	v_fmac_f16_e32 v74, 0x34f2, v61
	v_fmac_f16_e32 v62, 0x34f2, v61
	;; [unrolled: 1-line block ×4, first 2 shown]
	v_mul_f16_e32 v20, 0x3b9c, v79
	v_mul_f16_e32 v36, 0x34f2, v22
	;; [unrolled: 1-line block ×4, first 2 shown]
	v_fmac_f16_e32 v38, 0x34f2, v59
	v_fmac_f16_e32 v39, 0x34f2, v59
	v_mul_f16_e32 v59, 0x3a79, v66
	v_mul_f16_e32 v64, 0x3a79, v72
	v_fmac_f16_e32 v19, 0x3a79, v76
	v_fmac_f16_e32 v60, 0x3a79, v78
	v_pack_b32_f16 v17, v17, v18
	v_fmac_f16_e32 v20, 0x34f2, v77
	v_fma_f16 v18, v67, 0x3b9c, -v36
	v_fmac_f16_e32 v61, 0x34f2, v79
	v_fma_f16 v22, v22, 0xbb9c, -v63
	v_pack_b32_f16 v65, v25, v35
	v_fma_f16 v35, v72, 0x38b4, -v59
	v_fma_f16 v36, v66, 0xb8b4, -v64
	v_add_f16_e32 v59, v38, v19
	v_add_f16_e32 v67, v74, v60
	;; [unrolled: 1-line block ×8, first 2 shown]
	v_sub_f16_e32 v25, v38, v19
	v_sub_f16_e32 v37, v37, v20
	;; [unrolled: 1-line block ×8, first 2 shown]
	v_pack_b32_f16 v18, v59, v67
	v_pack_b32_f16 v19, v63, v68
	;; [unrolled: 1-line block ×8, first 2 shown]
	ds_write2_b32 v56, v65, v18 offset1:40
	ds_write2_b32 v56, v19, v20 offset0:80 offset1:120
	ds_write2_b32 v56, v21, v17 offset0:160 offset1:200
	;; [unrolled: 1-line block ×4, first 2 shown]
	s_waitcnt lgkmcnt(0)
	s_barrier
	buffer_gl0_inv
	ds_read_b32 v36, v41
	ds_read_b32 v66, v41 offset:1600
	ds_read_b32 v65, v41 offset:3200
	;; [unrolled: 1-line block ×5, first 2 shown]
	s_and_saveexec_b32 s1, s0
	s_cbranch_execz .LBB0_11
; %bb.10:
	ds_read_b32 v25, v41 offset:960
	ds_read_b32 v37, v41 offset:2560
	;; [unrolled: 1-line block ×6, first 2 shown]
	s_waitcnt lgkmcnt(5)
	v_lshrrev_b32_e32 v35, 16, v25
	s_waitcnt lgkmcnt(4)
	v_lshrrev_b32_e32 v61, 16, v37
	;; [unrolled: 2-line block ×5, first 2 shown]
.LBB0_11:
	s_or_b32 exec_lo, exec_lo, s1
	v_mad_u64_u32 v[17:18], null, v48, 20, s[2:3]
	s_waitcnt lgkmcnt(3)
	v_lshrrev_b32_e32 v69, 16, v65
	s_waitcnt lgkmcnt(2)
	v_lshrrev_b32_e32 v70, 16, v64
	s_waitcnt lgkmcnt(0)
	v_lshrrev_b32_e32 v72, 16, v62
	v_lshrrev_b32_e32 v71, 16, v63
	v_lshrrev_b32_e32 v73, 16, v24
	s_clause 0x1
	global_load_dwordx4 v[20:23], v[17:18], off offset:1584
	global_load_dword v59, v[17:18], off offset:1600
	v_add_nc_u32_e32 v17, 0xffffff60, v48
	v_cndmask_b32_e64 v16, v17, v16, s0
	v_mul_i32_i24_e32 v17, 20, v16
	v_mul_hi_i32_i24_e32 v16, 20, v16
	v_add_co_u32 v67, s1, s2, v17
	v_add_co_ci_u32_e64 v68, s1, s3, v16, s1
	s_clause 0x1
	global_load_dwordx4 v[16:19], v[67:68], off offset:1584
	global_load_dword v58, v[67:68], off offset:1600
	v_lshrrev_b32_e32 v68, 16, v66
	v_lshrrev_b32_e32 v67, 16, v36
	s_waitcnt vmcnt(3)
	v_mul_f16_sdwa v75, v66, v20 dst_sel:DWORD dst_unused:UNUSED_PAD src0_sel:DWORD src1_sel:WORD_1
	v_mul_f16_sdwa v76, v69, v21 dst_sel:DWORD dst_unused:UNUSED_PAD src0_sel:DWORD src1_sel:WORD_1
	;; [unrolled: 1-line block ×6, first 2 shown]
	s_waitcnt vmcnt(2)
	v_mul_f16_sdwa v82, v72, v59 dst_sel:DWORD dst_unused:UNUSED_PAD src0_sel:DWORD src1_sel:WORD_1
	v_mul_f16_sdwa v83, v62, v59 dst_sel:DWORD dst_unused:UNUSED_PAD src0_sel:DWORD src1_sel:WORD_1
	;; [unrolled: 1-line block ×4, first 2 shown]
	v_fmac_f16_e32 v75, v68, v20
	v_fma_f16 v65, v65, v21, -v76
	v_fmac_f16_e32 v77, v69, v21
	v_fma_f16 v64, v64, v22, -v78
	v_fmac_f16_e32 v79, v70, v22
	v_fmac_f16_e32 v81, v71, v23
	v_fma_f16 v62, v62, v59, -v82
	v_fmac_f16_e32 v83, v72, v59
	v_fma_f16 v66, v66, v20, -v74
	v_fma_f16 v63, v63, v23, -v80
	v_add_f16_e32 v68, v36, v65
	v_sub_f16_e32 v70, v77, v81
	v_add_f16_e32 v71, v67, v77
	v_add_f16_e32 v72, v77, v81
	;; [unrolled: 1-line block ×3, first 2 shown]
	v_sub_f16_e32 v77, v79, v83
	v_add_f16_e32 v78, v75, v79
	v_add_f16_e32 v79, v79, v83
	s_waitcnt vmcnt(1)
	v_mul_f16_sdwa v80, v61, v16 dst_sel:DWORD dst_unused:UNUSED_PAD src0_sel:DWORD src1_sel:WORD_1
	v_mul_f16_sdwa v84, v60, v17 dst_sel:DWORD dst_unused:UNUSED_PAD src0_sel:DWORD src1_sel:WORD_1
	;; [unrolled: 1-line block ×4, first 2 shown]
	s_waitcnt vmcnt(0)
	v_mul_f16_sdwa v90, v34, v58 dst_sel:DWORD dst_unused:UNUSED_PAD src0_sel:DWORD src1_sel:WORD_1
	v_mul_f16_sdwa v91, v33, v58 dst_sel:DWORD dst_unused:UNUSED_PAD src0_sel:DWORD src1_sel:WORD_1
	v_add_f16_e32 v69, v65, v63
	v_sub_f16_e32 v65, v65, v63
	v_add_f16_e32 v74, v66, v64
	v_sub_f16_e32 v64, v64, v62
	v_mul_f16_sdwa v82, v37, v16 dst_sel:DWORD dst_unused:UNUSED_PAD src0_sel:DWORD src1_sel:WORD_1
	v_mul_f16_sdwa v85, v38, v17 dst_sel:DWORD dst_unused:UNUSED_PAD src0_sel:DWORD src1_sel:WORD_1
	;; [unrolled: 1-line block ×4, first 2 shown]
	v_add_f16_e32 v63, v68, v63
	v_add_f16_e32 v68, v71, v81
	v_fmac_f16_e32 v66, -0.5, v76
	v_fmac_f16_e32 v75, -0.5, v79
	v_fma_f16 v71, v37, v16, -v80
	v_fma_f16 v37, v38, v17, -v84
	;; [unrolled: 1-line block ×3, first 2 shown]
	v_fmac_f16_e32 v87, v40, v18
	v_fma_f16 v39, v33, v58, -v90
	v_fmac_f16_e32 v91, v34, v58
	v_fmac_f16_e32 v36, -0.5, v69
	v_fmac_f16_e32 v67, -0.5, v72
	v_add_f16_e32 v62, v74, v62
	v_add_f16_e32 v69, v78, v83
	v_fmac_f16_e32 v82, v61, v16
	v_fmac_f16_e32 v85, v60, v17
	v_fma_f16 v24, v24, v19, -v88
	v_fmac_f16_e32 v89, v73, v19
	v_fmamk_f16 v60, v77, 0x3aee, v66
	v_fmac_f16_e32 v66, 0xbaee, v77
	v_fmamk_f16 v61, v64, 0xbaee, v75
	v_add_f16_e32 v74, v38, v39
	v_add_f16_e32 v78, v87, v91
	v_fmamk_f16 v40, v70, 0x3aee, v36
	v_fmac_f16_e32 v36, 0xbaee, v70
	v_fmamk_f16 v70, v65, 0xbaee, v67
	v_fmac_f16_e32 v67, 0x3aee, v65
	v_fmac_f16_e32 v75, 0x3aee, v64
	v_add_f16_e32 v33, v63, v62
	v_sub_f16_e32 v62, v63, v62
	v_sub_f16_e32 v63, v68, v69
	v_add_f16_e32 v64, v25, v37
	v_add_f16_e32 v65, v37, v24
	;; [unrolled: 1-line block ×3, first 2 shown]
	v_sub_f16_e32 v73, v37, v24
	v_add_f16_e32 v37, v71, v38
	v_sub_f16_e32 v76, v87, v91
	v_add_f16_e32 v77, v82, v87
	v_sub_f16_e32 v79, v38, v39
	v_mul_f16_e32 v80, 0x3aee, v61
	v_mul_f16_e32 v81, -0.5, v66
	v_fmac_f16_e32 v71, -0.5, v74
	v_fmac_f16_e32 v82, -0.5, v78
	v_add_f16_e32 v34, v68, v69
	v_sub_f16_e32 v68, v85, v89
	v_add_f16_e32 v69, v35, v85
	v_mul_f16_e32 v83, 0xbaee, v60
	v_mul_f16_e32 v84, -0.5, v75
	v_pack_b32_f16 v85, v62, v63
	v_fmac_f16_e32 v35, -0.5, v72
	v_fmac_f16_e32 v80, 0.5, v60
	v_fmac_f16_e32 v81, 0x3aee, v75
	v_fmamk_f16 v62, v76, 0x3aee, v71
	v_fmac_f16_e32 v71, 0xbaee, v76
	v_fmamk_f16 v63, v79, 0xbaee, v82
	v_fmac_f16_e32 v82, 0x3aee, v79
	v_pack_b32_f16 v38, v33, v34
	v_add_f16_e32 v24, v64, v24
	v_fmac_f16_e32 v25, -0.5, v65
	v_add_f16_e32 v33, v69, v89
	v_add_f16_e32 v34, v37, v39
	v_fmac_f16_e32 v83, 0.5, v61
	v_fmac_f16_e32 v84, 0xbaee, v66
	v_fmamk_f16 v39, v73, 0xbaee, v35
	v_fmac_f16_e32 v35, 0x3aee, v73
	v_add_f16_e32 v64, v40, v80
	v_add_f16_e32 v65, v36, v81
	v_sub_f16_e32 v69, v40, v80
	v_sub_f16_e32 v72, v36, v81
	v_mul_f16_e32 v36, 0x3aee, v63
	v_mul_f16_e32 v73, -0.5, v71
	v_mul_f16_e32 v40, 0xbaee, v62
	v_mul_f16_e32 v74, -0.5, v82
	v_add_f16_e32 v37, v77, v91
	ds_write_b32 v41, v38
	v_fmamk_f16 v38, v68, 0x3aee, v25
	v_fmac_f16_e32 v25, 0xbaee, v68
	v_add_f16_e32 v66, v70, v83
	v_add_f16_e32 v68, v67, v84
	v_sub_f16_e32 v70, v70, v83
	v_sub_f16_e32 v67, v67, v84
	v_fmac_f16_e32 v73, 0x3aee, v82
	v_fmac_f16_e32 v74, 0xbaee, v71
	v_fmac_f16_e32 v36, 0.5, v62
	v_fmac_f16_e32 v40, 0.5, v63
	v_sub_f16_e32 v60, v24, v34
	v_sub_f16_e32 v61, v33, v37
	v_pack_b32_f16 v75, v64, v66
	v_pack_b32_f16 v68, v65, v68
	;; [unrolled: 1-line block ×4, first 2 shown]
	v_add_f16_e32 v62, v25, v73
	v_add_f16_e32 v63, v35, v74
	v_sub_f16_e32 v66, v38, v36
	v_sub_f16_e32 v64, v25, v73
	;; [unrolled: 1-line block ×4, first 2 shown]
	ds_write_b32 v41, v75 offset:1600
	ds_write_b32 v41, v68 offset:3200
	;; [unrolled: 1-line block ×5, first 2 shown]
	s_and_saveexec_b32 s1, s0
	s_cbranch_execz .LBB0_13
; %bb.12:
	v_add_f16_e32 v33, v33, v37
	v_add_f16_e32 v24, v24, v34
	;; [unrolled: 1-line block ×4, first 2 shown]
	v_perm_b32 v35, v63, v62, 0x5040100
	v_perm_b32 v36, v65, v64, 0x5040100
	v_pack_b32_f16 v24, v24, v33
	v_perm_b32 v33, v61, v60, 0x5040100
	v_pack_b32_f16 v25, v34, v25
	v_perm_b32 v34, v67, v66, 0x5040100
	ds_write_b32 v41, v24 offset:960
	ds_write_b32 v41, v25 offset:2560
	;; [unrolled: 1-line block ×6, first 2 shown]
.LBB0_13:
	s_or_b32 exec_lo, exec_lo, s1
	v_add_co_u32 v24, s1, 0x2000, v28
	v_add_co_ci_u32_e64 v25, s1, 0, v29, s1
	s_waitcnt lgkmcnt(0)
	s_barrier
	buffer_gl0_inv
	global_load_dword v39, v[24:25], off offset:1408
	v_add_co_u32 v35, s1, 0x3800, v28
	v_add_co_ci_u32_e64 v36, s1, 0, v29, s1
	v_add_co_u32 v37, s1, 0x4000, v28
	v_add_co_ci_u32_e64 v38, s1, 0, v29, s1
	;; [unrolled: 2-line block ×3, first 2 shown]
	s_clause 0x3
	global_load_dword v72, v[35:36], off offset:64
	global_load_dword v73, v[37:38], off offset:1376
	global_load_dword v74, v[35:36], off offset:1024
	global_load_dword v75, v[33:34], off offset:960
	v_add_co_u32 v35, s1, 0x2800, v28
	v_add_co_ci_u32_e64 v36, s1, 0, v29, s1
	global_load_dword v76, v[35:36], off offset:1760
	v_add_co_u32 v35, s1, 0x3000, v28
	v_add_co_ci_u32_e64 v36, s1, 0, v29, s1
	s_clause 0x1
	global_load_dword v77, v[37:38], off offset:416
	global_load_dword v78, v[35:36], off offset:672
	ds_read2_b32 v[35:36], v41 offset1:240
	s_waitcnt lgkmcnt(0)
	v_lshrrev_b32_e32 v37, 16, v35
	v_lshrrev_b32_e32 v79, 16, v36
	s_waitcnt vmcnt(7)
	v_mul_f16_sdwa v38, v37, v39 dst_sel:DWORD dst_unused:UNUSED_PAD src0_sel:DWORD src1_sel:WORD_1
	v_mul_f16_sdwa v40, v35, v39 dst_sel:DWORD dst_unused:UNUSED_PAD src0_sel:DWORD src1_sel:WORD_1
	v_fma_f16 v35, v35, v39, -v38
	v_fmac_f16_e32 v40, v37, v39
	v_add_nc_u32_e32 v38, 0x1c00, v41
	v_add_nc_u32_e32 v37, 0x12c0, v41
	v_pack_b32_f16 v39, v35, v40
	v_add_nc_u32_e32 v35, 0x940, v41
	s_waitcnt vmcnt(3)
	v_mul_f16_sdwa v80, v79, v75 dst_sel:DWORD dst_unused:UNUSED_PAD src0_sel:DWORD src1_sel:WORD_1
	v_mul_f16_sdwa v81, v36, v75 dst_sel:DWORD dst_unused:UNUSED_PAD src0_sel:DWORD src1_sel:WORD_1
	ds_write_b32 v41, v39
	ds_read2_b32 v[39:40], v35 offset0:8 offset1:248
	ds_read2_b32 v[68:69], v37 offset1:240
	ds_read2_b32 v[70:71], v38 offset0:8 offset1:248
	v_fma_f16 v36, v36, v75, -v80
	v_fmac_f16_e32 v81, v79, v75
	v_pack_b32_f16 v36, v36, v81
	s_waitcnt lgkmcnt(2)
	v_lshrrev_b32_e32 v75, 16, v39
	s_waitcnt vmcnt(2)
	v_mul_f16_sdwa v79, v39, v76 dst_sel:DWORD dst_unused:UNUSED_PAD src0_sel:DWORD src1_sel:WORD_1
	s_waitcnt lgkmcnt(1)
	v_lshrrev_b32_e32 v80, 16, v68
	v_mul_f16_sdwa v81, v68, v72 dst_sel:DWORD dst_unused:UNUSED_PAD src0_sel:DWORD src1_sel:WORD_1
	s_waitcnt lgkmcnt(0)
	v_lshrrev_b32_e32 v82, 16, v70
	s_waitcnt vmcnt(1)
	v_mul_f16_sdwa v83, v70, v77 dst_sel:DWORD dst_unused:UNUSED_PAD src0_sel:DWORD src1_sel:WORD_1
	v_lshrrev_b32_e32 v84, 16, v40
	s_waitcnt vmcnt(0)
	v_mul_f16_sdwa v85, v40, v78 dst_sel:DWORD dst_unused:UNUSED_PAD src0_sel:DWORD src1_sel:WORD_1
	v_lshrrev_b32_e32 v86, 16, v69
	v_mul_f16_sdwa v87, v69, v74 dst_sel:DWORD dst_unused:UNUSED_PAD src0_sel:DWORD src1_sel:WORD_1
	v_lshrrev_b32_e32 v88, 16, v71
	v_mul_f16_sdwa v90, v75, v76 dst_sel:DWORD dst_unused:UNUSED_PAD src0_sel:DWORD src1_sel:WORD_1
	v_fmac_f16_e32 v79, v75, v76
	v_mul_f16_sdwa v75, v80, v72 dst_sel:DWORD dst_unused:UNUSED_PAD src0_sel:DWORD src1_sel:WORD_1
	v_fmac_f16_e32 v81, v80, v72
	;; [unrolled: 2-line block ×4, first 2 shown]
	v_mul_f16_sdwa v84, v86, v74 dst_sel:DWORD dst_unused:UNUSED_PAD src0_sel:DWORD src1_sel:WORD_1
	v_mul_f16_sdwa v89, v71, v73 dst_sel:DWORD dst_unused:UNUSED_PAD src0_sel:DWORD src1_sel:WORD_1
	v_fmac_f16_e32 v87, v86, v74
	v_mul_f16_sdwa v86, v88, v73 dst_sel:DWORD dst_unused:UNUSED_PAD src0_sel:DWORD src1_sel:WORD_1
	v_fma_f16 v39, v39, v76, -v90
	v_fma_f16 v40, v40, v78, -v82
	;; [unrolled: 1-line block ×4, first 2 shown]
	v_fmac_f16_e32 v89, v88, v73
	v_fma_f16 v70, v70, v77, -v80
	v_fma_f16 v71, v71, v73, -v86
	v_pack_b32_f16 v39, v39, v79
	v_pack_b32_f16 v40, v40, v85
	v_pack_b32_f16 v68, v68, v81
	v_pack_b32_f16 v69, v69, v87
	v_pack_b32_f16 v70, v70, v83
	v_pack_b32_f16 v71, v71, v89
	ds_write_b32 v41, v36 offset:960
	ds_write2_b32 v35, v39, v40 offset0:8 offset1:248
	ds_write2_b32 v37, v68, v69 offset1:240
	ds_write2_b32 v38, v70, v71 offset0:8 offset1:248
	s_and_saveexec_b32 s2, vcc_lo
	s_cbranch_execz .LBB0_15
; %bb.14:
	v_add_co_u32 v39, s1, 0x1000, v33
	v_add_co_ci_u32_e64 v40, s1, 0, v34, s1
	v_add_co_u32 v68, s1, 0x1800, v33
	global_load_dword v36, v[33:34], off offset:1920
	v_add_co_ci_u32_e64 v69, s1, 0, v34, s1
	v_add_co_u32 v33, s1, 0x2000, v33
	v_add_co_ci_u32_e64 v34, s1, 0, v34, s1
	s_clause 0x2
	global_load_dword v39, v[39:40], off offset:224
	global_load_dword v40, v[68:69], off offset:576
	;; [unrolled: 1-line block ×3, first 2 shown]
	ds_read_b32 v34, v41 offset:1920
	ds_read_b32 v68, v41 offset:4320
	;; [unrolled: 1-line block ×4, first 2 shown]
	s_waitcnt lgkmcnt(3)
	v_lshrrev_b32_e32 v71, 16, v34
	s_waitcnt lgkmcnt(2)
	v_lshrrev_b32_e32 v74, 16, v68
	;; [unrolled: 2-line block ×4, first 2 shown]
	s_waitcnt vmcnt(3)
	v_mul_f16_sdwa v72, v71, v36 dst_sel:DWORD dst_unused:UNUSED_PAD src0_sel:DWORD src1_sel:WORD_1
	v_mul_f16_sdwa v73, v34, v36 dst_sel:DWORD dst_unused:UNUSED_PAD src0_sel:DWORD src1_sel:WORD_1
	v_fma_f16 v34, v34, v36, -v72
	v_fmac_f16_e32 v73, v71, v36
	s_waitcnt vmcnt(2)
	v_mul_f16_sdwa v36, v74, v39 dst_sel:DWORD dst_unused:UNUSED_PAD src0_sel:DWORD src1_sel:WORD_1
	v_mul_f16_sdwa v71, v68, v39 dst_sel:DWORD dst_unused:UNUSED_PAD src0_sel:DWORD src1_sel:WORD_1
	s_waitcnt vmcnt(1)
	v_mul_f16_sdwa v72, v75, v40 dst_sel:DWORD dst_unused:UNUSED_PAD src0_sel:DWORD src1_sel:WORD_1
	v_mul_f16_sdwa v77, v69, v40 dst_sel:DWORD dst_unused:UNUSED_PAD src0_sel:DWORD src1_sel:WORD_1
	;; [unrolled: 3-line block ×3, first 2 shown]
	v_fma_f16 v36, v68, v39, -v36
	v_fmac_f16_e32 v71, v74, v39
	v_fma_f16 v39, v69, v40, -v72
	v_fmac_f16_e32 v77, v75, v40
	;; [unrolled: 2-line block ×3, first 2 shown]
	v_pack_b32_f16 v33, v34, v73
	v_pack_b32_f16 v34, v36, v71
	;; [unrolled: 1-line block ×4, first 2 shown]
	ds_write_b32 v41, v33 offset:1920
	ds_write_b32 v41, v34 offset:4320
	;; [unrolled: 1-line block ×4, first 2 shown]
.LBB0_15:
	s_or_b32 exec_lo, exec_lo, s2
	s_waitcnt lgkmcnt(0)
	s_barrier
	buffer_gl0_inv
	ds_read2_b32 v[33:34], v41 offset1:240
	ds_read2_b32 v[35:36], v35 offset0:8 offset1:248
	ds_read2_b32 v[39:40], v37 offset1:240
	ds_read2_b32 v[37:38], v38 offset0:8 offset1:248
	s_and_saveexec_b32 s1, vcc_lo
	s_cbranch_execz .LBB0_17
; %bb.16:
	ds_read_b32 v62, v41 offset:1920
	ds_read_b32 v60, v41 offset:4320
	;; [unrolled: 1-line block ×4, first 2 shown]
	s_waitcnt lgkmcnt(3)
	v_lshrrev_b32_e32 v63, 16, v62
	s_waitcnt lgkmcnt(2)
	v_lshrrev_b32_e32 v61, 16, v60
	;; [unrolled: 2-line block ×4, first 2 shown]
.LBB0_17:
	s_or_b32 exec_lo, exec_lo, s1
	s_waitcnt lgkmcnt(1)
	v_pk_add_f16 v69, v34, v40 neg_lo:[0,1] neg_hi:[0,1]
	v_pk_add_f16 v68, v33, v39 neg_lo:[0,1] neg_hi:[0,1]
	s_waitcnt lgkmcnt(0)
	v_pk_add_f16 v71, v36, v38 neg_lo:[0,1] neg_hi:[0,1]
	v_pk_add_f16 v70, v35, v37 neg_lo:[0,1] neg_hi:[0,1]
	v_sub_f16_e32 v38, v63, v67
	v_lshrrev_b32_e32 v40, 16, v69
	v_lshrrev_b32_e32 v39, 16, v68
	v_sub_f16_e32 v37, v62, v66
	v_add_f16_sdwa v67, v68, v70 dst_sel:DWORD dst_unused:UNUSED_PAD src0_sel:DWORD src1_sel:WORD_1
	v_sub_f16_e32 v64, v60, v64
	v_sub_f16_e32 v74, v40, v71
	v_sub_f16_e32 v73, v39, v70
	v_sub_f16_e32 v65, v61, v65
	v_pk_fma_f16 v35, v35, 2.0, v70 op_sel_hi:[1,0,1] neg_lo:[0,0,1] neg_hi:[0,0,1]
	v_add_f16_sdwa v72, v69, v71 dst_sel:DWORD dst_unused:UNUSED_PAD src0_sel:DWORD src1_sel:WORD_1
	v_fma_f16 v78, v40, 2.0, -v74
	v_fma_f16 v40, v63, 2.0, -v38
	v_pk_fma_f16 v63, v33, 2.0, v68 op_sel_hi:[1,0,1] neg_lo:[0,0,1] neg_hi:[0,0,1]
	v_fma_f16 v75, v68, 2.0, -v67
	v_pk_fma_f16 v68, v34, 2.0, v69 op_sel_hi:[1,0,1] neg_lo:[0,0,1] neg_hi:[0,0,1]
	v_pk_fma_f16 v36, v36, 2.0, v71 op_sel_hi:[1,0,1] neg_lo:[0,0,1] neg_hi:[0,0,1]
	v_fma_f16 v77, v39, 2.0, -v73
	v_fma_f16 v39, v62, 2.0, -v37
	;; [unrolled: 1-line block ×4, first 2 shown]
	v_pk_add_f16 v62, v63, v35 neg_lo:[0,1] neg_hi:[0,1]
	v_fma_f16 v76, v69, 2.0, -v72
	v_pk_add_f16 v66, v68, v36 neg_lo:[0,1] neg_hi:[0,1]
	v_sub_f16_e32 v33, v39, v60
	v_sub_f16_e32 v35, v40, v61
	v_add_f16_e32 v34, v65, v37
	v_sub_f16_e32 v36, v38, v64
	v_pk_fma_f16 v60, v63, 2.0, v62 op_sel_hi:[1,0,1] neg_lo:[0,0,1] neg_hi:[0,0,1]
	v_pack_b32_f16 v63, v67, v73
	v_pack_b32_f16 v61, v75, v77
	v_pk_fma_f16 v64, v68, 2.0, v66 op_sel_hi:[1,0,1] neg_lo:[0,0,1] neg_hi:[0,0,1]
	v_pack_b32_f16 v67, v72, v74
	v_pack_b32_f16 v65, v76, v78
	s_barrier
	buffer_gl0_inv
	ds_write_b128 v53, v[60:63]
	ds_write_b128 v54, v[64:67]
	s_and_saveexec_b32 s1, vcc_lo
	s_cbranch_execz .LBB0_19
; %bb.18:
	v_fma_f16 v37, v37, 2.0, -v34
	v_fma_f16 v38, v38, 2.0, -v36
	;; [unrolled: 1-line block ×4, first 2 shown]
	v_pack_b32_f16 v38, v37, v38
	v_pack_b32_f16 v37, v39, v40
	v_perm_b32 v40, v36, v34, 0x5040100
	v_perm_b32 v39, v35, v33, 0x5040100
	ds_write_b128 v55, v[37:40]
.LBB0_19:
	s_or_b32 exec_lo, exec_lo, s1
	s_waitcnt lgkmcnt(0)
	s_barrier
	buffer_gl0_inv
	v_add_nc_u32_e32 v55, 0x780, v41
	ds_read2_b32 v[37:38], v41 offset1:240
	v_add_nc_u32_e32 v64, 0xf00, v41
	v_add_nc_u32_e32 v65, 0x1680, v41
	;; [unrolled: 1-line block ×3, first 2 shown]
	ds_read2_b32 v[39:40], v55 offset1:240
	ds_read2_b32 v[53:54], v64 offset1:240
	;; [unrolled: 1-line block ×4, first 2 shown]
	s_waitcnt lgkmcnt(0)
	s_barrier
	buffer_gl0_inv
	v_lshrrev_b32_e32 v68, 16, v38
	v_mul_f16_sdwa v69, v4, v38 dst_sel:DWORD dst_unused:UNUSED_PAD src0_sel:WORD_1 src1_sel:DWORD
	v_lshrrev_b32_e32 v67, 16, v37
	v_lshrrev_b32_e32 v70, 16, v39
	;; [unrolled: 1-line block ×4, first 2 shown]
	v_mul_f16_sdwa v78, v4, v68 dst_sel:DWORD dst_unused:UNUSED_PAD src0_sel:WORD_1 src1_sel:DWORD
	v_fma_f16 v68, v4, v68, -v69
	v_mul_f16_sdwa v69, v5, v39 dst_sel:DWORD dst_unused:UNUSED_PAD src0_sel:WORD_1 src1_sel:DWORD
	v_lshrrev_b32_e32 v73, 16, v54
	v_lshrrev_b32_e32 v74, 16, v60
	v_mul_f16_sdwa v79, v6, v40 dst_sel:DWORD dst_unused:UNUSED_PAD src0_sel:WORD_1 src1_sel:DWORD
	v_mul_f16_sdwa v80, v7, v53 dst_sel:DWORD dst_unused:UNUSED_PAD src0_sel:WORD_1 src1_sel:DWORD
	v_fmac_f16_e32 v78, v4, v38
	v_mul_f16_sdwa v4, v5, v70 dst_sel:DWORD dst_unused:UNUSED_PAD src0_sel:WORD_1 src1_sel:DWORD
	v_mul_f16_sdwa v38, v6, v71 dst_sel:DWORD dst_unused:UNUSED_PAD src0_sel:WORD_1 src1_sel:DWORD
	v_fma_f16 v69, v5, v70, -v69
	v_mul_f16_sdwa v70, v7, v72 dst_sel:DWORD dst_unused:UNUSED_PAD src0_sel:WORD_1 src1_sel:DWORD
	v_lshrrev_b32_e32 v76, 16, v62
	v_fma_f16 v71, v6, v71, -v79
	v_fmac_f16_e32 v4, v5, v39
	v_fmac_f16_e32 v38, v6, v40
	v_mul_f16_sdwa v5, v0, v73 dst_sel:DWORD dst_unused:UNUSED_PAD src0_sel:WORD_1 src1_sel:DWORD
	v_fmac_f16_e32 v70, v7, v53
	v_fma_f16 v6, v7, v72, -v80
	v_mul_f16_sdwa v7, v0, v54 dst_sel:DWORD dst_unused:UNUSED_PAD src0_sel:WORD_1 src1_sel:DWORD
	v_mul_f16_sdwa v39, v1, v74 dst_sel:DWORD dst_unused:UNUSED_PAD src0_sel:WORD_1 src1_sel:DWORD
	v_lshrrev_b32_e32 v75, 16, v61
	v_fmac_f16_e32 v5, v0, v54
	v_mul_f16_sdwa v40, v1, v60 dst_sel:DWORD dst_unused:UNUSED_PAD src0_sel:WORD_1 src1_sel:DWORD
	v_fma_f16 v0, v0, v73, -v7
	v_fmac_f16_e32 v39, v1, v60
	v_mul_f16_sdwa v7, v3, v62 dst_sel:DWORD dst_unused:UNUSED_PAD src0_sel:WORD_1 src1_sel:DWORD
	v_mul_f16_sdwa v60, v3, v76 dst_sel:DWORD dst_unused:UNUSED_PAD src0_sel:WORD_1 src1_sel:DWORD
	v_lshrrev_b32_e32 v77, 16, v63
	v_mul_f16_sdwa v53, v2, v75 dst_sel:DWORD dst_unused:UNUSED_PAD src0_sel:WORD_1 src1_sel:DWORD
	v_fma_f16 v1, v1, v74, -v40
	v_mul_f16_sdwa v40, v2, v61 dst_sel:DWORD dst_unused:UNUSED_PAD src0_sel:WORD_1 src1_sel:DWORD
	v_add_f16_e32 v54, v70, v39
	v_fma_f16 v7, v3, v76, -v7
	v_fmac_f16_e32 v60, v3, v62
	v_fmac_f16_e32 v53, v2, v61
	v_mul_f16_sdwa v61, v52, v77 dst_sel:DWORD dst_unused:UNUSED_PAD src0_sel:WORD_1 src1_sel:DWORD
	v_add_f16_e32 v72, v37, v4
	v_fma_f16 v54, -0.5, v54, v37
	v_sub_f16_e32 v73, v69, v7
	v_fma_f16 v2, v2, v75, -v40
	v_add_f16_e32 v75, v4, v60
	v_fmac_f16_e32 v61, v52, v63
	v_add_f16_e32 v3, v72, v70
	v_fmamk_f16 v40, v73, 0xbb9c, v54
	v_sub_f16_e32 v62, v6, v1
	v_sub_f16_e32 v72, v4, v70
	;; [unrolled: 1-line block ×3, first 2 shown]
	v_mul_f16_sdwa v63, v52, v63 dst_sel:DWORD dst_unused:UNUSED_PAD src0_sel:WORD_1 src1_sel:DWORD
	v_fmac_f16_e32 v37, -0.5, v75
	v_fmac_f16_e32 v54, 0x3b9c, v73
	v_add_f16_e32 v76, v67, v69
	v_add_f16_e32 v3, v3, v39
	v_fmac_f16_e32 v40, 0xb8b4, v62
	v_add_f16_e32 v72, v72, v74
	v_fma_f16 v52, v52, v77, -v63
	v_fmamk_f16 v63, v62, 0x3b9c, v37
	v_fmac_f16_e32 v54, 0x38b4, v62
	v_fmac_f16_e32 v37, 0xbb9c, v62
	v_add_f16_e32 v62, v76, v6
	v_add_f16_e32 v3, v3, v60
	v_fmac_f16_e32 v40, 0x34f2, v72
	v_sub_f16_e32 v74, v70, v4
	v_sub_f16_e32 v75, v39, v60
	v_add_f16_e32 v77, v6, v1
	v_sub_f16_e32 v4, v4, v60
	v_fmac_f16_e32 v54, 0x34f2, v72
	v_add_f16_e32 v60, v62, v1
	v_add_f16_e32 v72, v69, v7
	v_fmac_f16_e32 v63, 0xb8b4, v73
	v_add_f16_e32 v74, v74, v75
	v_fma_f16 v75, -0.5, v77, v67
	v_fmac_f16_e32 v37, 0x38b4, v73
	v_sub_f16_e32 v39, v70, v39
	v_sub_f16_e32 v70, v69, v6
	;; [unrolled: 1-line block ×3, first 2 shown]
	v_fmac_f16_e32 v67, -0.5, v72
	v_add_f16_e32 v60, v60, v7
	v_sub_f16_e32 v6, v6, v69
	v_sub_f16_e32 v1, v1, v7
	v_add_f16_e32 v7, v78, v38
	v_fmamk_f16 v72, v39, 0xbb9c, v67
	v_fmac_f16_e32 v67, 0x3b9c, v39
	v_fmamk_f16 v62, v4, 0x3b9c, v75
	v_add_f16_e32 v1, v6, v1
	v_add_f16_e32 v6, v7, v5
	v_add_f16_e32 v7, v5, v53
	v_fmac_f16_e32 v75, 0xbb9c, v4
	v_fmac_f16_e32 v72, 0x38b4, v4
	;; [unrolled: 1-line block ×3, first 2 shown]
	v_add_f16_e32 v4, v6, v53
	v_fma_f16 v6, -0.5, v7, v78
	v_add_f16_e32 v7, v38, v61
	v_fmac_f16_e32 v62, 0x38b4, v39
	v_fmac_f16_e32 v75, 0xb8b4, v39
	v_sub_f16_e32 v39, v71, v52
	v_fmac_f16_e32 v72, 0x34f2, v1
	v_fmac_f16_e32 v67, 0x34f2, v1
	v_add_f16_e32 v1, v4, v61
	v_sub_f16_e32 v4, v0, v2
	v_fmac_f16_e32 v78, -0.5, v7
	v_add_f16_e32 v70, v70, v73
	v_fmamk_f16 v7, v39, 0xbb9c, v6
	v_fmac_f16_e32 v6, 0x3b9c, v39
	v_sub_f16_e32 v69, v38, v5
	v_fmamk_f16 v73, v4, 0x3b9c, v78
	v_fmac_f16_e32 v78, 0xbb9c, v4
	v_fmac_f16_e32 v62, 0x34f2, v70
	v_fmac_f16_e32 v75, 0x34f2, v70
	v_sub_f16_e32 v70, v61, v53
	v_fmac_f16_e32 v7, 0xb8b4, v4
	v_fmac_f16_e32 v6, 0x38b4, v4
	v_add_f16_e32 v4, v0, v2
	v_fmac_f16_e32 v63, 0x34f2, v74
	v_fmac_f16_e32 v37, 0x34f2, v74
	v_sub_f16_e32 v74, v5, v38
	v_sub_f16_e32 v76, v53, v61
	v_fmac_f16_e32 v73, 0xb8b4, v39
	v_fmac_f16_e32 v78, 0x38b4, v39
	v_add_f16_e32 v39, v71, v52
	v_add_f16_e32 v69, v69, v70
	v_fma_f16 v4, -0.5, v4, v68
	v_sub_f16_e32 v38, v38, v61
	v_add_f16_e32 v70, v74, v76
	v_add_f16_e32 v61, v68, v71
	v_sub_f16_e32 v5, v5, v53
	v_fmac_f16_e32 v68, -0.5, v39
	v_fmac_f16_e32 v7, 0x34f2, v69
	v_fmac_f16_e32 v6, 0x34f2, v69
	v_fmamk_f16 v39, v38, 0x3b9c, v4
	v_sub_f16_e32 v53, v71, v0
	v_sub_f16_e32 v69, v52, v2
	v_fmac_f16_e32 v73, 0x34f2, v70
	v_fmac_f16_e32 v78, 0x34f2, v70
	v_fmamk_f16 v70, v5, 0xbb9c, v68
	v_sub_f16_e32 v71, v0, v71
	v_sub_f16_e32 v74, v2, v52
	v_fmac_f16_e32 v68, 0x3b9c, v5
	v_fmac_f16_e32 v4, 0xbb9c, v38
	;; [unrolled: 1-line block ×3, first 2 shown]
	v_add_f16_e32 v53, v53, v69
	v_fmac_f16_e32 v70, 0x38b4, v38
	v_add_f16_e32 v69, v71, v74
	v_fmac_f16_e32 v68, 0xb8b4, v38
	;; [unrolled: 2-line block ×3, first 2 shown]
	v_fmac_f16_e32 v39, 0x34f2, v53
	v_fmac_f16_e32 v70, 0x34f2, v69
	;; [unrolled: 1-line block ×3, first 2 shown]
	v_add_f16_e32 v0, v0, v2
	v_fmac_f16_e32 v4, 0x34f2, v53
	v_mul_f16_e32 v2, 0xb8b4, v39
	v_mul_f16_e32 v39, 0x3a79, v39
	;; [unrolled: 1-line block ×6, first 2 shown]
	v_add_f16_e32 v0, v0, v52
	v_mul_f16_e32 v52, 0xb8b4, v4
	v_mul_f16_e32 v4, 0xba79, v4
	v_fmac_f16_e32 v2, 0x3a79, v7
	v_fmac_f16_e32 v39, 0x38b4, v7
	;; [unrolled: 1-line block ×8, first 2 shown]
	v_add_f16_e32 v53, v3, v1
	v_add_f16_e32 v61, v40, v2
	;; [unrolled: 1-line block ×10, first 2 shown]
	v_sub_f16_e32 v1, v3, v1
	v_sub_f16_e32 v0, v60, v0
	;; [unrolled: 1-line block ×10, first 2 shown]
	v_pack_b32_f16 v6, v53, v6
	v_pack_b32_f16 v7, v61, v7
	;; [unrolled: 1-line block ×10, first 2 shown]
	ds_write2_b32 v51, v6, v7 offset1:4
	ds_write2_b32 v51, v52, v53 offset0:8 offset1:12
	ds_write2_b32 v51, v54, v0 offset0:16 offset1:20
	;; [unrolled: 1-line block ×4, first 2 shown]
	s_waitcnt lgkmcnt(0)
	s_barrier
	buffer_gl0_inv
	ds_read2_b32 v[1:2], v41 offset1:240
	ds_read2_b32 v[3:4], v55 offset1:240
	;; [unrolled: 1-line block ×5, first 2 shown]
	s_waitcnt lgkmcnt(0)
	s_barrier
	buffer_gl0_inv
	v_lshrrev_b32_e32 v0, 16, v2
	v_lshrrev_b32_e32 v51, 16, v3
	;; [unrolled: 1-line block ×3, first 2 shown]
	v_mul_f16_sdwa v63, v12, v2 dst_sel:DWORD dst_unused:UNUSED_PAD src0_sel:WORD_1 src1_sel:DWORD
	v_lshrrev_b32_e32 v53, 16, v5
	v_mul_f16_sdwa v61, v12, v0 dst_sel:DWORD dst_unused:UNUSED_PAD src0_sel:WORD_1 src1_sel:DWORD
	v_mul_f16_sdwa v64, v13, v51 dst_sel:DWORD dst_unused:UNUSED_PAD src0_sel:WORD_1 src1_sel:DWORD
	v_lshrrev_b32_e32 v54, 16, v6
	v_fma_f16 v0, v12, v0, -v63
	v_lshrrev_b32_e32 v55, 16, v37
	v_fmac_f16_e32 v61, v12, v2
	v_mul_f16_sdwa v2, v13, v3 dst_sel:DWORD dst_unused:UNUSED_PAD src0_sel:WORD_1 src1_sel:DWORD
	v_fmac_f16_e32 v64, v13, v3
	v_mul_f16_sdwa v3, v14, v52 dst_sel:DWORD dst_unused:UNUSED_PAD src0_sel:WORD_1 src1_sel:DWORD
	v_mul_f16_sdwa v12, v14, v4 dst_sel:DWORD dst_unused:UNUSED_PAD src0_sel:WORD_1 src1_sel:DWORD
	v_lshrrev_b32_e32 v60, 16, v38
	v_fma_f16 v2, v13, v51, -v2
	v_mul_f16_sdwa v13, v15, v53 dst_sel:DWORD dst_unused:UNUSED_PAD src0_sel:WORD_1 src1_sel:DWORD
	v_mul_f16_sdwa v51, v15, v5 dst_sel:DWORD dst_unused:UNUSED_PAD src0_sel:WORD_1 src1_sel:DWORD
	v_fmac_f16_e32 v3, v14, v4
	v_fma_f16 v4, v14, v52, -v12
	v_mul_f16_sdwa v12, v8, v54 dst_sel:DWORD dst_unused:UNUSED_PAD src0_sel:WORD_1 src1_sel:DWORD
	v_lshrrev_b32_e32 v62, 16, v39
	v_fmac_f16_e32 v13, v15, v5
	v_fma_f16 v5, v15, v53, -v51
	v_mul_f16_sdwa v14, v8, v6 dst_sel:DWORD dst_unused:UNUSED_PAD src0_sel:WORD_1 src1_sel:DWORD
	v_mul_f16_sdwa v15, v9, v55 dst_sel:DWORD dst_unused:UNUSED_PAD src0_sel:WORD_1 src1_sel:DWORD
	v_fmac_f16_e32 v12, v8, v6
	v_mul_f16_sdwa v6, v9, v37 dst_sel:DWORD dst_unused:UNUSED_PAD src0_sel:WORD_1 src1_sel:DWORD
	v_mul_f16_sdwa v51, v10, v60 dst_sel:DWORD dst_unused:UNUSED_PAD src0_sel:WORD_1 src1_sel:DWORD
	v_fma_f16 v8, v8, v54, -v14
	v_fmac_f16_e32 v15, v9, v37
	v_mul_f16_sdwa v14, v11, v39 dst_sel:DWORD dst_unused:UNUSED_PAD src0_sel:WORD_1 src1_sel:DWORD
	v_fma_f16 v6, v9, v55, -v6
	v_fmac_f16_e32 v51, v10, v38
	v_mul_f16_sdwa v9, v10, v38 dst_sel:DWORD dst_unused:UNUSED_PAD src0_sel:WORD_1 src1_sel:DWORD
	v_mul_f16_sdwa v38, v11, v62 dst_sel:DWORD dst_unused:UNUSED_PAD src0_sel:WORD_1 src1_sel:DWORD
	v_lshrrev_b32_e32 v65, 16, v40
	v_add_f16_e32 v37, v13, v15
	v_fma_f16 v14, v11, v62, -v14
	v_add_f16_e32 v53, v1, v64
	v_fmac_f16_e32 v38, v11, v39
	v_fma_f16 v9, v10, v60, -v9
	v_lshrrev_b32_e32 v7, 16, v1
	v_mul_f16_sdwa v52, v57, v65 dst_sel:DWORD dst_unused:UNUSED_PAD src0_sel:WORD_1 src1_sel:DWORD
	v_fma_f16 v37, -0.5, v37, v1
	v_add_f16_e32 v60, v64, v38
	v_sub_f16_e32 v54, v2, v14
	v_add_f16_e32 v10, v53, v13
	v_sub_f16_e32 v39, v5, v6
	v_sub_f16_e32 v53, v64, v13
	;; [unrolled: 1-line block ×3, first 2 shown]
	v_fmac_f16_e32 v1, -0.5, v60
	v_fmac_f16_e32 v52, v57, v40
	v_fmamk_f16 v11, v54, 0xbb9c, v37
	v_mul_f16_sdwa v40, v57, v40 dst_sel:DWORD dst_unused:UNUSED_PAD src0_sel:WORD_1 src1_sel:DWORD
	v_add_f16_e32 v53, v53, v55
	v_fmac_f16_e32 v37, 0x3b9c, v54
	v_fmamk_f16 v55, v39, 0x3b9c, v1
	v_add_f16_e32 v62, v7, v2
	v_fmac_f16_e32 v1, 0xbb9c, v39
	v_add_f16_e32 v10, v10, v15
	v_fmac_f16_e32 v11, 0xb8b4, v39
	v_fma_f16 v40, v57, v65, -v40
	v_sub_f16_e32 v57, v13, v64
	v_sub_f16_e32 v60, v15, v38
	v_fmac_f16_e32 v37, 0x38b4, v39
	v_add_f16_e32 v63, v5, v6
	v_fmac_f16_e32 v55, 0xb8b4, v54
	v_add_f16_e32 v39, v62, v5
	;; [unrolled: 2-line block ×3, first 2 shown]
	v_add_f16_e32 v10, v10, v38
	v_add_f16_e32 v57, v57, v60
	v_fma_f16 v60, -0.5, v63, v7
	v_sub_f16_e32 v38, v64, v38
	v_add_f16_e32 v39, v39, v6
	v_sub_f16_e32 v13, v13, v15
	v_sub_f16_e32 v15, v2, v5
	v_sub_f16_e32 v62, v14, v6
	v_fmac_f16_e32 v7, -0.5, v54
	v_sub_f16_e32 v2, v5, v2
	v_sub_f16_e32 v5, v6, v14
	v_add_f16_e32 v6, v61, v3
	v_fmac_f16_e32 v11, 0x34f2, v53
	v_fmac_f16_e32 v37, 0x34f2, v53
	v_fmamk_f16 v53, v38, 0x3b9c, v60
	v_fmac_f16_e32 v60, 0xbb9c, v38
	v_fmamk_f16 v54, v13, 0xbb9c, v7
	v_add_f16_e32 v2, v2, v5
	v_fmac_f16_e32 v7, 0x3b9c, v13
	v_add_f16_e32 v5, v6, v12
	v_add_f16_e32 v6, v12, v51
	v_fmac_f16_e32 v53, 0x38b4, v13
	v_fmac_f16_e32 v60, 0xb8b4, v13
	;; [unrolled: 1-line block ×4, first 2 shown]
	v_add_f16_e32 v5, v5, v51
	v_add_f16_e32 v13, v3, v52
	;; [unrolled: 1-line block ×3, first 2 shown]
	v_fma_f16 v6, -0.5, v6, v61
	v_sub_f16_e32 v14, v4, v40
	v_add_f16_e32 v15, v15, v62
	v_fmac_f16_e32 v54, 0x34f2, v2
	v_fmac_f16_e32 v7, 0x34f2, v2
	v_add_f16_e32 v2, v5, v52
	v_sub_f16_e32 v5, v8, v9
	v_fmac_f16_e32 v61, -0.5, v13
	v_fmamk_f16 v13, v14, 0xbb9c, v6
	v_fmac_f16_e32 v6, 0x3b9c, v14
	v_fmac_f16_e32 v55, 0x34f2, v57
	;; [unrolled: 1-line block ×5, first 2 shown]
	v_sub_f16_e32 v15, v3, v12
	v_sub_f16_e32 v38, v52, v51
	v_fmamk_f16 v57, v5, 0x3b9c, v61
	v_fmac_f16_e32 v61, 0xbb9c, v5
	v_sub_f16_e32 v62, v12, v3
	v_sub_f16_e32 v63, v51, v52
	v_fmac_f16_e32 v13, 0xb8b4, v5
	v_fmac_f16_e32 v6, 0x38b4, v5
	v_add_f16_e32 v5, v8, v9
	v_add_f16_e32 v15, v15, v38
	v_fmac_f16_e32 v57, 0xb8b4, v14
	v_fmac_f16_e32 v61, 0x38b4, v14
	v_add_f16_e32 v14, v4, v40
	v_add_f16_e32 v38, v62, v63
	v_fma_f16 v5, -0.5, v5, v0
	v_sub_f16_e32 v3, v3, v52
	v_fmac_f16_e32 v13, 0x34f2, v15
	v_fmac_f16_e32 v6, 0x34f2, v15
	v_add_f16_e32 v15, v0, v4
	v_sub_f16_e32 v12, v12, v51
	v_fmac_f16_e32 v0, -0.5, v14
	v_fmac_f16_e32 v57, 0x34f2, v38
	v_fmac_f16_e32 v61, 0x34f2, v38
	v_fmamk_f16 v14, v3, 0x3b9c, v5
	v_sub_f16_e32 v38, v4, v8
	v_sub_f16_e32 v51, v40, v9
	v_fmamk_f16 v52, v12, 0xbb9c, v0
	v_sub_f16_e32 v4, v8, v4
	v_sub_f16_e32 v62, v9, v40
	v_fmac_f16_e32 v0, 0x3b9c, v12
	v_fmac_f16_e32 v5, 0xbb9c, v3
	;; [unrolled: 1-line block ×3, first 2 shown]
	v_add_f16_e32 v38, v38, v51
	v_fmac_f16_e32 v52, 0x38b4, v3
	v_add_f16_e32 v4, v4, v62
	v_fmac_f16_e32 v0, 0xb8b4, v3
	v_fmac_f16_e32 v5, 0xb8b4, v12
	v_add_f16_e32 v3, v15, v8
	v_fmac_f16_e32 v14, 0x34f2, v38
	v_fmac_f16_e32 v52, 0x34f2, v4
	;; [unrolled: 1-line block ×4, first 2 shown]
	v_add_f16_e32 v3, v3, v9
	v_mul_f16_e32 v4, 0xb8b4, v14
	v_mul_f16_e32 v14, 0x3a79, v14
	v_mul_f16_e32 v8, 0xbb9c, v52
	v_mul_f16_e32 v9, 0xbb9c, v0
	v_mul_f16_e32 v52, 0x34f2, v52
	v_mul_f16_e32 v63, 0xb4f2, v0
	v_mul_f16_e32 v15, 0xb8b4, v5
	v_mul_f16_e32 v64, 0xba79, v5
	v_add_f16_e32 v12, v3, v40
	v_fmac_f16_e32 v4, 0x3a79, v13
	v_fmac_f16_e32 v14, 0x38b4, v13
	;; [unrolled: 1-line block ×8, first 2 shown]
	v_add_f16_e32 v38, v10, v2
	v_add_f16_e32 v40, v11, v4
	;; [unrolled: 1-line block ×10, first 2 shown]
	v_sub_f16_e32 v10, v10, v2
	v_sub_f16_e32 v2, v55, v8
	;; [unrolled: 1-line block ×10, first 2 shown]
	v_pack_b32_f16 v9, v38, v13
	v_pack_b32_f16 v11, v40, v57
	v_pack_b32_f16 v12, v51, v61
	v_pack_b32_f16 v13, v62, v66
	v_pack_b32_f16 v14, v65, v67
	v_pack_b32_f16 v8, v10, v8
	v_pack_b32_f16 v10, v0, v1
	v_pack_b32_f16 v15, v2, v6
	v_add_nc_u32_e32 v37, 0x200, v56
	v_pack_b32_f16 v38, v3, v5
	v_pack_b32_f16 v39, v4, v7
	v_add_nc_u32_e32 v40, 0x400, v56
	ds_write2_b32 v56, v9, v11 offset1:40
	ds_write2_b32 v56, v12, v13 offset0:80 offset1:120
	ds_write2_b32 v56, v14, v8 offset0:160 offset1:200
	;; [unrolled: 1-line block ×4, first 2 shown]
	s_waitcnt lgkmcnt(0)
	s_barrier
	buffer_gl0_inv
	ds_read_b32 v8, v41
	ds_read_b32 v13, v41 offset:1600
	ds_read_b32 v12, v41 offset:3200
	;; [unrolled: 1-line block ×5, first 2 shown]
	s_and_saveexec_b32 s1, s0
	s_cbranch_execz .LBB0_21
; %bb.20:
	ds_read_b32 v0, v41 offset:960
	ds_read_b32 v2, v41 offset:2560
	;; [unrolled: 1-line block ×6, first 2 shown]
	s_waitcnt lgkmcnt(5)
	v_lshrrev_b32_e32 v1, 16, v0
	s_waitcnt lgkmcnt(4)
	v_lshrrev_b32_e32 v6, 16, v2
	;; [unrolled: 2-line block ×6, first 2 shown]
.LBB0_21:
	s_or_b32 exec_lo, exec_lo, s1
	s_waitcnt lgkmcnt(4)
	v_lshrrev_b32_e32 v14, 16, v13
	s_waitcnt lgkmcnt(3)
	v_lshrrev_b32_e32 v37, 16, v12
	;; [unrolled: 2-line block ×4, first 2 shown]
	v_mul_f16_sdwa v51, v20, v13 dst_sel:DWORD dst_unused:UNUSED_PAD src0_sel:WORD_1 src1_sel:DWORD
	v_mul_f16_sdwa v40, v20, v14 dst_sel:DWORD dst_unused:UNUSED_PAD src0_sel:WORD_1 src1_sel:DWORD
	;; [unrolled: 1-line block ×4, first 2 shown]
	s_waitcnt lgkmcnt(0)
	v_lshrrev_b32_e32 v52, 16, v9
	v_lshrrev_b32_e32 v15, 16, v8
	v_fmac_f16_e32 v40, v20, v13
	v_fma_f16 v13, v20, v14, -v51
	v_mul_f16_sdwa v14, v22, v38 dst_sel:DWORD dst_unused:UNUSED_PAD src0_sel:WORD_1 src1_sel:DWORD
	v_fmac_f16_e32 v53, v21, v12
	v_mul_f16_sdwa v12, v23, v39 dst_sel:DWORD dst_unused:UNUSED_PAD src0_sel:WORD_1 src1_sel:DWORD
	v_fma_f16 v20, v21, v37, -v54
	v_mul_f16_sdwa v21, v22, v11 dst_sel:DWORD dst_unused:UNUSED_PAD src0_sel:WORD_1 src1_sel:DWORD
	v_fmac_f16_e32 v14, v22, v11
	v_mul_f16_sdwa v11, v23, v10 dst_sel:DWORD dst_unused:UNUSED_PAD src0_sel:WORD_1 src1_sel:DWORD
	v_fmac_f16_e32 v12, v23, v10
	v_mul_f16_sdwa v10, v59, v52 dst_sel:DWORD dst_unused:UNUSED_PAD src0_sel:WORD_1 src1_sel:DWORD
	v_fma_f16 v21, v22, v38, -v21
	v_mul_f16_sdwa v22, v59, v9 dst_sel:DWORD dst_unused:UNUSED_PAD src0_sel:WORD_1 src1_sel:DWORD
	v_fma_f16 v11, v23, v39, -v11
	v_add_f16_e32 v23, v53, v12
	v_fmac_f16_e32 v10, v59, v9
	v_add_f16_e32 v9, v8, v53
	v_fma_f16 v22, v59, v52, -v22
	v_add_f16_e32 v37, v20, v11
	v_fmac_f16_e32 v8, -0.5, v23
	v_sub_f16_e32 v23, v20, v11
	v_add_f16_e32 v20, v15, v20
	v_add_f16_e32 v9, v9, v12
	v_fmac_f16_e32 v15, -0.5, v37
	v_sub_f16_e32 v12, v53, v12
	v_fmamk_f16 v37, v23, 0xbaee, v8
	v_fmac_f16_e32 v8, 0x3aee, v23
	v_add_f16_e32 v23, v21, v22
	v_add_f16_e32 v38, v14, v10
	;; [unrolled: 1-line block ×4, first 2 shown]
	v_fmamk_f16 v20, v12, 0x3aee, v15
	v_fmac_f16_e32 v13, -0.5, v23
	v_sub_f16_e32 v23, v14, v10
	v_add_f16_e32 v14, v40, v14
	v_fmac_f16_e32 v40, -0.5, v38
	v_sub_f16_e32 v21, v21, v22
	v_fmac_f16_e32 v15, 0xbaee, v12
	v_fmamk_f16 v12, v23, 0x3aee, v13
	v_fmac_f16_e32 v13, 0xbaee, v23
	v_add_f16_e32 v10, v14, v10
	v_fmamk_f16 v14, v21, 0xbaee, v40
	v_fmac_f16_e32 v40, 0x3aee, v21
	v_mul_f16_e32 v21, 0xbaee, v12
	v_mul_f16_e32 v12, 0.5, v12
	v_mul_f16_e32 v23, 0xbaee, v13
	v_mul_f16_e32 v13, -0.5, v13
	v_add_f16_e32 v22, v39, v22
	v_fmac_f16_e32 v21, 0.5, v14
	v_fmac_f16_e32 v12, 0x3aee, v14
	v_fmac_f16_e32 v23, -0.5, v40
	v_fmac_f16_e32 v13, 0x3aee, v40
	v_add_f16_e32 v38, v9, v10
	v_add_f16_e32 v14, v37, v21
	;; [unrolled: 1-line block ×6, first 2 shown]
	v_sub_f16_e32 v9, v9, v10
	v_sub_f16_e32 v11, v11, v22
	;; [unrolled: 1-line block ×6, first 2 shown]
	v_pack_b32_f16 v21, v38, v40
	v_pack_b32_f16 v14, v14, v51
	;; [unrolled: 1-line block ×6, first 2 shown]
	ds_write_b32 v41, v21
	ds_write_b32 v41, v14 offset:1600
	ds_write_b32 v41, v15 offset:3200
	;; [unrolled: 1-line block ×5, first 2 shown]
	s_and_saveexec_b32 s1, s0
	s_cbranch_execz .LBB0_23
; %bb.22:
	v_mul_f16_sdwa v8, v17, v3 dst_sel:DWORD dst_unused:UNUSED_PAD src0_sel:WORD_1 src1_sel:DWORD
	v_mul_f16_sdwa v10, v18, v7 dst_sel:DWORD dst_unused:UNUSED_PAD src0_sel:WORD_1 src1_sel:DWORD
	;; [unrolled: 1-line block ×6, first 2 shown]
	v_fma_f16 v8, v17, v5, -v8
	v_mul_f16_sdwa v13, v58, v36 dst_sel:DWORD dst_unused:UNUSED_PAD src0_sel:WORD_1 src1_sel:DWORD
	v_fma_f16 v7, v18, v7, -v11
	v_fma_f16 v12, v58, v36, -v12
	v_fmac_f16_e32 v10, v18, v4
	v_fma_f16 v4, v16, v6, -v14
	v_mul_f16_sdwa v5, v17, v5 dst_sel:DWORD dst_unused:UNUSED_PAD src0_sel:WORD_1 src1_sel:DWORD
	v_mul_f16_sdwa v14, v19, v35 dst_sel:DWORD dst_unused:UNUSED_PAD src0_sel:WORD_1 src1_sel:DWORD
	v_fma_f16 v9, v19, v35, -v9
	v_mul_f16_sdwa v15, v16, v6 dst_sel:DWORD dst_unused:UNUSED_PAD src0_sel:WORD_1 src1_sel:DWORD
	v_fmac_f16_e32 v13, v58, v34
	v_add_f16_e32 v6, v12, v7
	v_fmac_f16_e32 v5, v17, v3
	v_fmac_f16_e32 v14, v19, v33
	v_add_f16_e32 v11, v9, v8
	v_fmac_f16_e32 v15, v16, v2
	v_add_f16_e32 v2, v13, v10
	v_fma_f16 v6, -0.5, v6, v4
	v_sub_f16_e32 v16, v10, v13
	v_sub_f16_e32 v3, v7, v12
	v_add_f16_e32 v4, v7, v4
	v_add_f16_e32 v7, v14, v5
	v_fma_f16 v2, -0.5, v2, v15
	v_fmamk_f16 v17, v16, 0xbaee, v6
	v_fma_f16 v11, -0.5, v11, v1
	v_fmac_f16_e32 v6, 0x3aee, v16
	v_sub_f16_e32 v16, v5, v14
	v_add_f16_e32 v1, v8, v1
	v_fma_f16 v7, -0.5, v7, v0
	v_add_f16_e32 v0, v5, v0
	v_add_f16_e32 v5, v10, v15
	v_fmamk_f16 v18, v3, 0x3aee, v2
	v_fmac_f16_e32 v2, 0xbaee, v3
	v_mul_f16_e32 v3, 0.5, v6
	v_add_f16_e32 v1, v9, v1
	v_add_f16_e32 v4, v12, v4
	v_sub_f16_e32 v8, v8, v9
	v_add_f16_e32 v0, v14, v0
	v_add_f16_e32 v5, v13, v5
	v_mul_f16_e32 v6, 0xbaee, v6
	v_mul_f16_e32 v19, -0.5, v17
	v_mul_f16_e32 v10, 0xbaee, v17
	v_fmamk_f16 v20, v16, 0xbaee, v11
	v_fmac_f16_e32 v11, 0x3aee, v16
	v_fmac_f16_e32 v3, 0x3aee, v2
	v_sub_f16_e32 v9, v1, v4
	v_fmamk_f16 v12, v8, 0x3aee, v7
	v_fmac_f16_e32 v7, 0xbaee, v8
	v_add_f16_e32 v1, v1, v4
	v_add_f16_e32 v4, v0, v5
	v_fmac_f16_e32 v6, 0.5, v2
	v_fmac_f16_e32 v19, 0x3aee, v18
	v_fmac_f16_e32 v10, -0.5, v18
	v_sub_f16_e32 v21, v11, v3
	v_add_f16_e32 v3, v11, v3
	v_pack_b32_f16 v1, v4, v1
	v_add_f16_e32 v4, v7, v6
	v_sub_f16_e32 v2, v12, v10
	v_add_f16_e32 v8, v20, v19
	v_add_f16_e32 v10, v12, v10
	v_sub_f16_e32 v0, v0, v5
	v_sub_f16_e32 v5, v7, v6
	;; [unrolled: 1-line block ×3, first 2 shown]
	ds_write_b32 v41, v1 offset:960
	v_pack_b32_f16 v1, v4, v3
	v_pack_b32_f16 v3, v10, v8
	;; [unrolled: 1-line block ×5, first 2 shown]
	ds_write_b32 v41, v1 offset:2560
	ds_write_b32 v41, v3 offset:4160
	;; [unrolled: 1-line block ×5, first 2 shown]
.LBB0_23:
	s_or_b32 exec_lo, exec_lo, s1
	s_waitcnt lgkmcnt(0)
	s_barrier
	buffer_gl0_inv
	ds_read2_b32 v[3:4], v41 offset1:240
	v_add_nc_u32_e32 v0, 0x940, v41
	v_add_nc_u32_e32 v1, 0x12c0, v41
	ds_read2_b32 v[5:6], v0 offset0:8 offset1:248
	ds_read2_b32 v[0:1], v1 offset1:240
	s_mov_b32 s4, 0xb4e81b4f
	s_mov_b32 s5, 0x3f3b4e81
	s_waitcnt lgkmcnt(2)
	v_lshrrev_b32_e32 v2, 16, v3
	v_mul_f16_sdwa v7, v49, v3 dst_sel:DWORD dst_unused:UNUSED_PAD src0_sel:WORD_1 src1_sel:DWORD
	v_mul_f16_sdwa v8, v49, v2 dst_sel:DWORD dst_unused:UNUSED_PAD src0_sel:WORD_1 src1_sel:DWORD
	v_fma_f16 v2, v49, v2, -v7
	s_waitcnt lgkmcnt(1)
	v_lshrrev_b32_e32 v9, 16, v5
	v_mul_f16_sdwa v7, v50, v5 dst_sel:DWORD dst_unused:UNUSED_PAD src0_sel:WORD_1 src1_sel:DWORD
	s_waitcnt lgkmcnt(0)
	v_lshrrev_b32_e32 v22, 16, v0
	v_fmac_f16_e32 v8, v49, v3
	v_cvt_f32_f16_e32 v2, v2
	v_mul_f16_sdwa v15, v50, v9 dst_sel:DWORD dst_unused:UNUSED_PAD src0_sel:WORD_1 src1_sel:DWORD
	v_fma_f16 v11, v50, v9, -v7
	v_mul_f16_sdwa v16, v47, v22 dst_sel:DWORD dst_unused:UNUSED_PAD src0_sel:WORD_1 src1_sel:DWORD
	v_cvt_f32_f16_e32 v10, v8
	v_cvt_f64_f32_e32 v[2:3], v2
	v_mad_u64_u32 v[7:8], null, s10, v32, 0
	v_cvt_f32_f16_e32 v13, v11
	v_cvt_f64_f32_e32 v[9:10], v10
	v_mad_u64_u32 v[11:12], null, s8, v48, 0
	v_fmac_f16_e32 v15, v50, v5
	v_cvt_f64_f32_e32 v[13:14], v13
	v_fmac_f16_e32 v16, v47, v0
	v_mov_b32_e32 v5, v8
	v_mul_f16_sdwa v0, v47, v0 dst_sel:DWORD dst_unused:UNUSED_PAD src0_sel:WORD_1 src1_sel:DWORD
	v_cvt_f32_f16_e32 v17, v15
	v_mov_b32_e32 v8, v12
	v_cvt_f32_f16_e32 v18, v16
	v_mad_u64_u32 v[15:16], null, s11, v32, v[5:6]
	v_cvt_f64_f32_e32 v[16:17], v17
	v_fma_f16 v0, v47, v22, -v0
	v_cvt_f64_f32_e32 v[18:19], v18
	v_mul_f64 v[2:3], v[2:3], s[4:5]
	v_cvt_f32_f16_e32 v0, v0
	v_mad_u64_u32 v[20:21], null, s9, v48, v[8:9]
	v_mul_f64 v[9:10], v[9:10], s[4:5]
	v_mov_b32_e32 v8, v15
	v_mul_f64 v[13:14], v[13:14], s[4:5]
	v_lshlrev_b64 v[7:8], 2, v[7:8]
	v_mov_b32_e32 v12, v20
	v_add_co_u32 v5, s0, s6, v7
	v_add_co_ci_u32_e64 v20, s0, s7, v8, s0
	v_and_or_b32 v2, 0x1ff, v3, v2
	v_mul_f64 v[7:8], v[16:17], s[4:5]
	v_mul_f64 v[15:16], v[18:19], s[4:5]
	v_lshrrev_b32_e32 v17, 8, v3
	v_bfe_u32 v18, v3, 20, 11
	v_cmp_ne_u32_e64 s0, 0, v2
	v_and_or_b32 v9, 0x1ff, v10, v9
	v_lshrrev_b32_e32 v19, 8, v10
	v_bfe_u32 v21, v10, 20, 11
	v_and_or_b32 v13, 0x1ff, v14, v13
	v_cndmask_b32_e64 v2, 0, 1, s0
	v_cmp_ne_u32_e64 s0, 0, v9
	v_bfe_u32 v33, v14, 20, 11
	v_sub_nc_u32_e32 v34, 0x3f1, v21
	v_sub_nc_u32_e32 v23, 0x3f1, v18
	v_and_or_b32 v2, 0xffe, v17, v2
	v_cndmask_b32_e64 v9, 0, 1, s0
	v_cmp_ne_u32_e64 s0, 0, v13
	v_add_nc_u32_e32 v18, 0xfffffc10, v18
	v_lshrrev_b32_e32 v32, 8, v14
	v_sub_nc_u32_e32 v36, 0x3f1, v33
	v_and_or_b32 v9, 0xffe, v19, v9
	v_cndmask_b32_e64 v13, 0, 1, s0
	v_and_or_b32 v7, 0x1ff, v8, v7
	v_med3_i32 v19, v34, 0, 13
	v_cmp_ne_u32_e64 s0, 0, v2
	v_or_b32_e32 v38, 0x1000, v9
	v_med3_i32 v17, v23, 0, 13
	v_or_b32_e32 v34, 0x1000, v2
	v_lshl_or_b32 v37, v18, 12, v2
	v_cndmask_b32_e64 v2, 0, 1, s0
	v_cmp_ne_u32_e64 s0, 0, v7
	v_and_or_b32 v13, 0xffe, v32, v13
	v_med3_i32 v32, v36, 0, 13
	v_lshrrev_b32_e32 v36, v19, v38
	v_add_nc_u32_e32 v21, 0xfffffc10, v21
	v_cndmask_b32_e64 v7, 0, 1, s0
	v_lshrrev_b32_e32 v48, v17, v34
	v_cmp_ne_u32_e64 s0, 0, v9
	v_lshlrev_b32_e32 v19, v19, v36
	v_lshrrev_b32_e32 v23, 8, v8
	v_bfe_u32 v35, v8, 20, 11
	v_lshl_or_b32 v40, v21, 12, v9
	v_cndmask_b32_e64 v9, 0, 1, s0
	v_lshlrev_b32_e32 v17, v17, v48
	v_cmp_ne_u32_e64 s0, v19, v38
	v_sub_nc_u32_e32 v39, 0x3f1, v35
	v_and_or_b32 v7, 0xffe, v23, v7
	v_add_nc_u32_e32 v35, 0xfffffc10, v35
	v_lshl_or_b32 v9, v9, 9, 0x7c00
	v_cndmask_b32_e64 v19, 0, 1, s0
	v_cmp_ne_u32_e64 s0, v17, v34
	v_med3_i32 v23, v39, 0, 13
	v_or_b32_e32 v38, 0x1000, v7
	v_or_b32_e32 v34, 0x1000, v13
	;; [unrolled: 1-line block ×3, first 2 shown]
	v_cndmask_b32_e64 v17, 0, 1, s0
	v_cmp_gt_i32_e64 s0, 1, v21
	v_lshrrev_b32_e32 v36, v23, v38
	v_lshrrev_b32_e32 v10, 16, v10
	v_lshl_or_b32 v2, v2, 9, 0x7c00
	v_or_b32_e32 v17, v48, v17
	v_cndmask_b32_e64 v19, v40, v19, s0
	v_cmp_gt_i32_e64 s0, 1, v18
	v_lshlrev_b32_e32 v23, v23, v36
	v_lshrrev_b32_e32 v3, 16, v3
	v_lshlrev_b64 v[11:12], 2, v[11:12]
	v_and_b32_e32 v39, 7, v19
	v_cndmask_b32_e64 v17, v37, v17, s0
	v_cmp_ne_u32_e64 s0, v23, v38
	v_lshrrev_b32_e32 v19, 2, v19
	v_lshl_or_b32 v37, v35, 12, v7
	v_cmp_eq_u32_e64 s1, 3, v39
	v_and_b32_e32 v38, 7, v17
	v_cndmask_b32_e64 v23, 0, 1, s0
	v_cmp_lt_i32_e64 s0, 5, v39
	v_lshrrev_b32_e32 v17, 2, v17
	v_lshrrev_b32_e32 v14, 16, v14
	v_cmp_lt_i32_e64 s2, 5, v38
	v_cmp_eq_u32_e64 s3, 3, v38
	s_or_b32 s0, s1, s0
	v_or_b32_e32 v23, v36, v23
	v_add_co_ci_u32_e64 v19, s0, 0, v19, s0
	s_or_b32 s0, s3, s2
	v_add_co_ci_u32_e64 v17, s0, 0, v17, s0
	v_cmp_gt_i32_e64 s0, 31, v21
	v_cndmask_b32_e64 v19, 0x7c00, v19, s0
	v_cmp_gt_i32_e64 s0, 1, v35
	v_cndmask_b32_e64 v23, v37, v23, s0
	;; [unrolled: 2-line block ×3, first 2 shown]
	v_cmp_eq_u32_e64 s0, 0x40f, v21
	v_and_b32_e32 v21, 7, v23
	v_cndmask_b32_e64 v9, v19, v9, s0
	v_cmp_eq_u32_e64 s0, 0x40f, v18
	v_lshrrev_b32_e32 v19, v32, v34
	v_cmp_eq_u32_e64 s1, 3, v21
	v_and_or_b32 v9, 0x8000, v10, v9
	v_cndmask_b32_e64 v2, v17, v2, s0
	v_lshlrev_b32_e32 v10, v32, v19
	v_cmp_lt_i32_e64 s0, 5, v21
	v_add_nc_u32_e32 v17, 0xfffffc10, v33
	v_and_or_b32 v2, 0x8000, v3, v2
	v_and_b32_e32 v3, 0xffff, v9
	v_lshrrev_b32_e32 v9, 2, v23
	v_cmp_ne_u32_e64 s2, v10, v34
	s_or_b32 s0, s1, s0
	v_lshrrev_b32_e32 v23, 16, v8
	v_lshl_or_b32 v18, v2, 16, v3
	v_add_co_ci_u32_e64 v9, s0, 0, v9, s0
	v_cndmask_b32_e64 v10, 0, 1, s2
	v_cmp_ne_u32_e64 s0, 0, v7
	v_lshl_or_b32 v3, v17, 12, v13
	v_or_b32_e32 v2, v19, v10
	v_cndmask_b32_e64 v7, 0, 1, s0
	v_cmp_gt_i32_e64 s0, 1, v17
	v_add_nc_u32_e32 v10, 0x1c00, v41
	v_lshl_or_b32 v7, v7, 9, 0x7c00
	v_cndmask_b32_e64 v19, v3, v2, s0
	v_cmp_gt_i32_e64 s0, 31, v35
	ds_read2_b32 v[2:3], v10 offset0:8 offset1:248
	v_and_b32_e32 v22, 7, v19
	v_cndmask_b32_e64 v21, 0x7c00, v9, s0
	v_cvt_f64_f32_e32 v[9:10], v0
	v_add_co_u32 v11, s0, v5, v11
	v_and_or_b32 v0, 0x1ff, v16, v15
	v_add_co_ci_u32_e64 v12, s0, v20, v12, s0
	v_cmp_eq_u32_e64 s0, 0x40f, v35
	v_cmp_eq_u32_e64 s1, 3, v22
	v_cmp_ne_u32_e64 s2, 0, v0
	v_lshrrev_b32_e32 v15, 8, v16
	global_store_dword v[11:12], v18, off
	v_cndmask_b32_e64 v5, v21, v7, s0
	v_cmp_lt_i32_e64 s0, 5, v22
	v_lshrrev_b32_e32 v7, 2, v19
	v_cndmask_b32_e64 v0, 0, 1, s2
	v_bfe_u32 v19, v16, 20, 11
	s_waitcnt lgkmcnt(0)
	v_lshrrev_b32_e32 v20, 16, v2
	s_or_b32 s0, s1, s0
	v_and_or_b32 v5, 0x8000, v23, v5
	v_add_co_ci_u32_e64 v7, s0, 0, v7, s0
	v_and_or_b32 v0, 0xffe, v15, v0
	v_mul_f64 v[9:10], v[9:10], s[4:5]
	v_sub_nc_u32_e32 v15, 0x3f1, v19
	v_mul_f16_sdwa v21, v46, v20 dst_sel:DWORD dst_unused:UNUSED_PAD src0_sel:WORD_1 src1_sel:DWORD
	v_cmp_ne_u32_e64 s0, 0, v13
	v_or_b32_e32 v22, 0x1000, v0
	v_and_b32_e32 v5, 0xffff, v5
	v_med3_i32 v15, v15, 0, 13
	v_fmac_f16_e32 v21, v46, v2
	v_cndmask_b32_e64 v13, 0, 1, s0
	v_cmp_gt_i32_e64 s0, 31, v17
	s_mul_i32 s1, s9, 0x258
	v_lshrrev_b32_e32 v32, v15, v22
	v_cvt_f32_f16_e32 v8, v21
	v_lshl_or_b32 v13, v13, 9, 0x7c00
	v_cndmask_b32_e64 v7, 0x7c00, v7, s0
	v_cmp_eq_u32_e64 s0, 0x40f, v17
	v_lshlrev_b32_e32 v15, v15, v32
	s_mul_hi_u32 s2, s8, 0x258
	v_mul_f16_sdwa v2, v46, v2 dst_sel:DWORD dst_unused:UNUSED_PAD src0_sel:WORD_1 src1_sel:DWORD
	s_add_i32 s3, s2, s1
	v_cndmask_b32_e64 v13, v7, v13, s0
	v_cvt_f64_f32_e32 v[7:8], v8
	v_cmp_ne_u32_e64 s0, v15, v22
	v_and_or_b32 v9, 0x1ff, v10, v9
	v_add_nc_u32_e32 v15, 0xfffffc10, v19
	v_and_or_b32 v13, 0x8000, v14, v13
	v_lshrrev_b32_e32 v18, 8, v10
	v_cndmask_b32_e64 v14, 0, 1, s0
	v_cmp_ne_u32_e64 s0, 0, v9
	v_lshl_or_b32 v17, v15, 12, v0
	v_bfe_u32 v19, v10, 20, 11
	v_lshl_or_b32 v5, v13, 16, v5
	v_or_b32_e32 v14, v32, v14
	v_cndmask_b32_e64 v9, 0, 1, s0
	v_cmp_gt_i32_e64 s0, 1, v15
	v_fma_f16 v2, v46, v20, -v2
	v_lshrrev_b32_e32 v23, 16, v4
	s_mul_i32 s2, s8, 0x258
	v_and_or_b32 v9, 0xffe, v18, v9
	v_cndmask_b32_e64 v14, v17, v14, s0
	v_sub_nc_u32_e32 v17, 0x3f1, v19
	v_cvt_f32_f16_e32 v2, v2
	s_lshl_b64 s[16:17], s[2:3], 2
	v_mul_f64 v[7:8], v[7:8], s[4:5]
	v_and_b32_e32 v18, 7, v14
	v_or_b32_e32 v13, 0x1000, v9
	v_med3_i32 v17, v17, 0, 13
	v_lshrrev_b32_e32 v14, 2, v14
	v_add_co_u32 v11, s2, v11, s16
	v_cmp_lt_i32_e64 s0, 5, v18
	v_cmp_eq_u32_e64 s1, 3, v18
	v_lshrrev_b32_e32 v18, v17, v13
	v_add_co_ci_u32_e64 v12, s2, s17, v12, s2
	s_or_b32 s0, s1, s0
	v_lshlrev_b32_e32 v17, v17, v18
	v_add_co_ci_u32_e64 v21, s0, 0, v14, s0
	global_store_dword v[11:12], v5, off
	v_cmp_ne_u32_e64 s0, v17, v13
	v_add_nc_u32_e32 v17, 0xfffffc10, v19
	v_and_or_b32 v7, 0x1ff, v8, v7
	v_lshrrev_b32_e32 v20, 8, v8
	v_cndmask_b32_e64 v13, 0, 1, s0
	v_cmp_ne_u32_e64 s0, 0, v0
	v_lshl_or_b32 v19, v17, 12, v9
	v_bfe_u32 v22, v8, 20, 11
	v_lshrrev_b32_e32 v8, 16, v8
	v_or_b32_e32 v18, v18, v13
	v_cndmask_b32_e64 v0, 0, 1, s0
	v_cmp_ne_u32_e64 s0, 0, v7
	v_cvt_f64_f32_e32 v[13:14], v2
	v_lshl_or_b32 v0, v0, 9, 0x7c00
	v_cndmask_b32_e64 v7, 0, 1, s0
	v_cmp_gt_i32_e64 s0, 1, v17
	v_and_or_b32 v7, 0xffe, v20, v7
	v_cndmask_b32_e64 v2, v19, v18, s0
	v_cmp_gt_i32_e64 s0, 31, v15
	v_sub_nc_u32_e32 v18, 0x3f1, v22
	v_and_b32_e32 v20, 7, v2
	v_cndmask_b32_e64 v19, 0x7c00, v21, s0
	v_cmp_eq_u32_e64 s0, 0x40f, v15
	v_or_b32_e32 v21, 0x1000, v7
	v_med3_i32 v18, v18, 0, 13
	v_cmp_eq_u32_e64 s1, 3, v20
	v_lshrrev_b32_e32 v2, 2, v2
	v_cndmask_b32_e64 v0, v19, v0, s0
	v_cmp_lt_i32_e64 s0, 5, v20
	v_lshrrev_b32_e32 v32, v18, v21
	v_mul_f16_sdwa v15, v45, v23 dst_sel:DWORD dst_unused:UNUSED_PAD src0_sel:WORD_1 src1_sel:DWORD
	v_mul_f64 v[13:14], v[13:14], s[4:5]
	v_lshrrev_b32_e32 v19, 16, v16
	s_or_b32 s0, s1, s0
	v_lshlrev_b32_e32 v16, v18, v32
	v_add_co_ci_u32_e64 v2, s0, 0, v2, s0
	v_cmp_ne_u32_e64 s0, 0, v9
	v_fmac_f16_e32 v15, v45, v4
	v_add_nc_u32_e32 v20, 0xfffffc10, v22
	v_and_or_b32 v0, 0x8000, v19, v0
	v_mul_f16_sdwa v4, v45, v4 dst_sel:DWORD dst_unused:UNUSED_PAD src0_sel:WORD_1 src1_sel:DWORD
	v_cndmask_b32_e64 v9, 0, 1, s0
	v_cmp_ne_u32_e64 s0, v16, v21
	v_cvt_f32_f16_e32 v15, v15
	v_lshl_or_b32 v19, v20, 12, v7
	v_and_b32_e32 v0, 0xffff, v0
	v_lshl_or_b32 v9, v9, 9, 0x7c00
	v_cndmask_b32_e64 v18, 0, 1, s0
	v_cmp_gt_i32_e64 s0, 31, v17
	v_cvt_f64_f32_e32 v[15:16], v15
	v_fma_f16 v4, v45, v23, -v4
	v_or_b32_e32 v18, v32, v18
	v_cndmask_b32_e64 v2, 0x7c00, v2, s0
	v_cmp_eq_u32_e64 s0, 0x40f, v17
	v_cndmask_b32_e64 v2, v2, v9, s0
	v_cmp_gt_i32_e64 s0, 1, v20
	v_lshrrev_b32_e32 v9, 16, v10
	v_and_or_b32 v10, 0x1ff, v14, v13
	v_cndmask_b32_e64 v17, v19, v18, s0
	v_and_or_b32 v2, 0x8000, v9, v2
	v_cmp_ne_u32_e64 s0, 0, v10
	v_lshrrev_b32_e32 v18, 8, v14
	v_bfe_u32 v19, v14, 20, 11
	v_and_b32_e32 v5, 7, v17
	v_mul_f64 v[9:10], v[15:16], s[4:5]
	v_cndmask_b32_e64 v13, 0, 1, s0
	v_lshl_or_b32 v0, v2, 16, v0
	v_lshrrev_b32_e32 v14, 16, v14
	v_cmp_lt_i32_e64 s0, 5, v5
	v_cmp_eq_u32_e64 s1, 3, v5
	v_and_or_b32 v2, 0xffe, v18, v13
	v_sub_nc_u32_e32 v13, 0x3f1, v19
	v_lshrrev_b32_e32 v5, 2, v17
	v_cvt_f32_f16_e32 v18, v4
	s_or_b32 s0, s1, s0
	v_or_b32_e32 v15, 0x1000, v2
	v_med3_i32 v13, v13, 0, 13
	v_add_co_ci_u32_e64 v16, s0, 0, v5, s0
	v_add_co_u32 v4, s0, v11, s16
	v_add_co_ci_u32_e64 v5, s0, s17, v12, s0
	v_lshrrev_b32_e32 v17, v13, v15
	v_cmp_gt_i32_e64 s0, 31, v20
	v_cvt_f64_f32_e32 v[11:12], v18
	v_and_or_b32 v9, 0x1ff, v10, v9
	v_bfe_u32 v18, v10, 20, 11
	v_lshlrev_b32_e32 v13, v13, v17
	v_cndmask_b32_e64 v16, 0x7c00, v16, s0
	v_cmp_ne_u32_e64 s0, 0, v7
	v_add_nc_u32_e32 v19, 0xfffffc10, v19
	global_store_dword v[4:5], v0, off
	v_cndmask_b32_e64 v7, 0, 1, s0
	v_cmp_ne_u32_e64 s0, v13, v15
	v_lshrrev_b32_e32 v15, 8, v10
	v_lshl_or_b32 v7, v7, 9, 0x7c00
	v_cndmask_b32_e64 v13, 0, 1, s0
	v_cmp_ne_u32_e64 s0, 0, v9
	v_or_b32_e32 v13, v17, v13
	v_cndmask_b32_e64 v9, 0, 1, s0
	v_cmp_eq_u32_e64 s0, 0x40f, v20
	v_lshl_or_b32 v17, v19, 12, v2
	v_mul_f64 v[11:12], v[11:12], s[4:5]
	v_and_or_b32 v9, 0xffe, v15, v9
	v_sub_nc_u32_e32 v15, 0x3f1, v18
	v_cndmask_b32_e64 v7, v16, v7, s0
	v_cmp_gt_i32_e64 s0, 1, v19
	v_or_b32_e32 v16, 0x1000, v9
	v_med3_i32 v15, v15, 0, 13
	v_and_or_b32 v22, 0x8000, v8, v7
	v_cndmask_b32_e64 v13, v17, v13, s0
	v_lshrrev_b32_e32 v17, 16, v6
	v_lshrrev_b32_e32 v20, v15, v16
	v_and_b32_e32 v21, 7, v13
	v_mul_f16_sdwa v0, v44, v17 dst_sel:DWORD dst_unused:UNUSED_PAD src0_sel:WORD_1 src1_sel:DWORD
	v_lshrrev_b32_e32 v8, 2, v13
	v_lshlrev_b32_e32 v7, v15, v20
	v_add_nc_u32_e32 v13, 0xfffffc10, v18
	v_cmp_lt_i32_e64 s0, 5, v21
	v_cmp_eq_u32_e64 s1, 3, v21
	v_fmac_f16_e32 v0, v44, v6
	v_cmp_ne_u32_e64 s2, v7, v16
	v_lshl_or_b32 v18, v13, 12, v9
	v_and_or_b32 v11, 0x1ff, v12, v11
	s_or_b32 s0, s1, s0
	v_cvt_f32_f16_e32 v0, v0
	v_add_co_ci_u32_e64 v15, s0, 0, v8, s0
	v_cndmask_b32_e64 v7, 0, 1, s2
	v_cmp_ne_u32_e64 s0, 0, v2
	v_lshrrev_b32_e32 v21, 16, v10
	s_mul_hi_u32 s2, s8, 0xfffff9e8
	v_or_b32_e32 v16, v20, v7
	v_cvt_f64_f32_e32 v[7:8], v0
	v_cndmask_b32_e64 v0, 0, 1, s0
	v_cmp_gt_i32_e64 s0, 1, v13
	v_lshl_or_b32 v0, v0, 9, 0x7c00
	v_cndmask_b32_e64 v2, v18, v16, s0
	v_cmp_ne_u32_e64 s0, 0, v11
	v_lshrrev_b32_e32 v16, 8, v12
	v_bfe_u32 v18, v12, 20, 11
	v_lshrrev_b32_e32 v12, 16, v12
	v_and_b32_e32 v20, 7, v2
	v_cndmask_b32_e64 v11, 0, 1, s0
	v_cmp_gt_i32_e64 s0, 31, v19
	v_lshrrev_b32_e32 v2, 2, v2
	v_cmp_eq_u32_e64 s1, 3, v20
	v_and_or_b32 v11, 0xffe, v16, v11
	v_cndmask_b32_e64 v15, 0x7c00, v15, s0
	v_sub_nc_u32_e32 v16, 0x3f1, v18
	v_cmp_eq_u32_e64 s0, 0x40f, v19
	v_mul_f64 v[7:8], v[7:8], s[4:5]
	v_and_b32_e32 v19, 0xffff, v22
	v_med3_i32 v16, v16, 0, 13
	v_cndmask_b32_e64 v0, v15, v0, s0
	v_or_b32_e32 v15, 0x1000, v11
	v_cmp_lt_i32_e64 s0, 5, v20
	v_and_or_b32 v0, 0x8000, v14, v0
	v_lshrrev_b32_e32 v14, v16, v15
	s_or_b32 s0, s1, s0
	v_add_co_ci_u32_e64 v2, s0, 0, v2, s0
	v_lshlrev_b32_e32 v16, v16, v14
	v_cmp_gt_i32_e64 s0, 31, v13
	v_lshl_or_b32 v19, v0, 16, v19
	v_mul_f16_sdwa v0, v44, v6 dst_sel:DWORD dst_unused:UNUSED_PAD src0_sel:WORD_1 src1_sel:DWORD
	v_cndmask_b32_e64 v2, 0x7c00, v2, s0
	v_cmp_ne_u32_e64 s0, v16, v15
	v_add_nc_u32_e32 v15, 0xfffffc10, v18
	v_fma_f16 v0, v44, v17, -v0
	v_and_or_b32 v16, 0x1ff, v8, v7
	v_bfe_u32 v17, v8, 20, 11
	v_cndmask_b32_e64 v6, 0, 1, s0
	v_cmp_ne_u32_e64 s0, 0, v9
	v_cvt_f32_f16_e32 v0, v0
	v_or_b32_e32 v6, v14, v6
	v_cndmask_b32_e64 v9, 0, 1, s0
	v_lshl_or_b32 v14, v15, 12, v11
	v_cmp_gt_i32_e64 s0, 1, v15
	v_lshl_or_b32 v9, v9, 9, 0x7c00
	v_cndmask_b32_e64 v14, v14, v6, s0
	v_cvt_f64_f32_e32 v[6:7], v0
	v_cmp_ne_u32_e64 s0, 0, v16
	v_lshrrev_b32_e32 v16, 8, v8
	v_and_b32_e32 v18, 7, v14
	v_cndmask_b32_e64 v0, 0, 1, s0
	v_cmp_eq_u32_e64 s0, 0x40f, v13
	v_lshrrev_b32_e32 v13, 2, v14
	v_cmp_eq_u32_e64 s1, 3, v18
	v_and_or_b32 v0, 0xffe, v16, v0
	v_cndmask_b32_e64 v2, v2, v9, s0
	v_cmp_lt_i32_e64 s0, 5, v18
	v_sub_nc_u32_e32 v9, 0x3f1, v17
	v_lshrrev_b32_e32 v16, 16, v1
	v_or_b32_e32 v14, 0x1000, v0
	v_and_or_b32 v2, 0x8000, v21, v2
	s_or_b32 s0, s1, s0
	v_med3_i32 v9, v9, 0, 13
	v_add_co_ci_u32_e64 v13, s0, 0, v13, s0
	v_cmp_ne_u32_e64 s0, 0, v11
	v_mul_f64 v[6:7], v[6:7], s[4:5]
	v_lshrrev_b32_e32 v18, v9, v14
	v_mul_f16_sdwa v20, v43, v16 dst_sel:DWORD dst_unused:UNUSED_PAD src0_sel:WORD_1 src1_sel:DWORD
	s_mul_i32 s1, s9, 0xfffff9e8
	v_cndmask_b32_e64 v11, 0, 1, s0
	v_cmp_gt_i32_e64 s0, 31, v15
	v_lshlrev_b32_e32 v9, v9, v18
	v_fmac_f16_e32 v20, v43, v1
	v_and_b32_e32 v2, 0xffff, v2
	v_lshl_or_b32 v11, v11, 9, 0x7c00
	v_cndmask_b32_e64 v13, 0x7c00, v13, s0
	v_cmp_eq_u32_e64 s0, 0x40f, v15
	v_cvt_f32_f16_e32 v10, v20
	v_mul_f16_sdwa v1, v43, v1 dst_sel:DWORD dst_unused:UNUSED_PAD src0_sel:WORD_1 src1_sel:DWORD
	v_cndmask_b32_e64 v11, v13, v11, s0
	v_cmp_ne_u32_e64 s0, v9, v14
	v_add_nc_u32_e32 v14, 0xfffffc10, v17
	v_cvt_f64_f32_e32 v[9:10], v10
	v_fma_f16 v1, v43, v16, -v1
	v_and_or_b32 v11, 0x8000, v12, v11
	v_cndmask_b32_e64 v13, 0, 1, s0
	v_add_co_u32 v4, s0, v4, s16
	v_add_co_ci_u32_e64 v5, s0, s17, v5, s0
	v_or_b32_e32 v12, v18, v13
	v_lshl_or_b32 v13, v14, 12, v0
	v_and_or_b32 v6, 0x1ff, v7, v6
	v_cmp_gt_i32_e64 s0, 1, v14
	v_bfe_u32 v15, v7, 20, 11
	v_lshrrev_b32_e32 v16, 16, v3
	v_cndmask_b32_e64 v12, v13, v12, s0
	v_cmp_ne_u32_e64 s0, 0, v6
	v_lshrrev_b32_e32 v13, 8, v7
	v_mul_f16_sdwa v22, v42, v16 dst_sel:DWORD dst_unused:UNUSED_PAD src0_sel:WORD_1 src1_sel:DWORD
	v_and_b32_e32 v17, 7, v12
	v_cndmask_b32_e64 v6, 0, 1, s0
	s_sub_i32 s0, s2, s8
	v_mul_f64 v[9:10], v[9:10], s[4:5]
	s_add_i32 s3, s0, s1
	v_cmp_lt_i32_e64 s0, 5, v17
	v_and_or_b32 v6, 0xffe, v13, v6
	v_sub_nc_u32_e32 v13, 0x3f1, v15
	v_cmp_eq_u32_e64 s1, 3, v17
	v_lshrrev_b32_e32 v12, 2, v12
	v_lshl_or_b32 v17, v11, 16, v2
	v_or_b32_e32 v18, 0x1000, v6
	v_med3_i32 v13, v13, 0, 13
	s_or_b32 s0, s1, s0
	s_mul_i32 s2, s8, 0xfffff9e8
	v_add_co_ci_u32_e64 v11, s0, 0, v12, s0
	v_lshrrev_b32_e32 v2, v13, v18
	v_cmp_ne_u32_e64 s0, 0, v0
	s_lshl_b64 s[6:7], s[2:3], 2
	v_fmac_f16_e32 v22, v42, v3
	v_mul_f16_sdwa v3, v42, v3 dst_sel:DWORD dst_unused:UNUSED_PAD src0_sel:WORD_1 src1_sel:DWORD
	v_lshlrev_b32_e32 v12, v13, v2
	v_cndmask_b32_e64 v0, 0, 1, s0
	v_cmp_gt_i32_e64 s0, 31, v14
	v_and_or_b32 v9, 0x1ff, v10, v9
	v_add_nc_u32_e32 v13, 0xfffffc10, v15
	v_bfe_u32 v15, v10, 20, 11
	v_lshl_or_b32 v0, v0, 9, 0x7c00
	v_cndmask_b32_e64 v11, 0x7c00, v11, s0
	v_cmp_ne_u32_e64 s0, v12, v18
	v_fma_f16 v3, v42, v16, -v3
	v_cndmask_b32_e64 v12, 0, 1, s0
	v_cmp_eq_u32_e64 s0, 0x40f, v14
	v_lshrrev_b32_e32 v14, 8, v10
	v_cvt_f32_f16_e32 v3, v3
	v_lshrrev_b32_e32 v10, 16, v10
	v_or_b32_e32 v2, v2, v12
	v_cndmask_b32_e64 v11, v11, v0, s0
	v_cmp_ne_u32_e64 s0, 0, v9
	v_cvt_f32_f16_e32 v0, v1
	v_lshl_or_b32 v12, v13, 12, v6
	v_cndmask_b32_e64 v9, 0, 1, s0
	v_cmp_gt_i32_e64 s0, 1, v13
	v_cvt_f64_f32_e32 v[0:1], v0
	v_and_or_b32 v14, 0xffe, v14, v9
	v_sub_nc_u32_e32 v9, 0x3f1, v15
	v_cndmask_b32_e64 v2, v12, v2, s0
	v_lshrrev_b32_e32 v12, 16, v8
	v_add_co_u32 v8, s0, v4, s6
	v_or_b32_e32 v20, 0x1000, v14
	v_med3_i32 v21, v9, 0, 13
	v_and_b32_e32 v18, 7, v2
	v_add_co_ci_u32_e64 v9, s0, s7, v5, s0
	v_lshrrev_b32_e32 v2, 2, v2
	v_lshrrev_b32_e32 v32, v21, v20
	v_cmp_lt_i32_e64 s0, 5, v18
	v_cmp_eq_u32_e64 s1, 3, v18
	v_and_or_b32 v23, 0x8000, v12, v11
	v_cvt_f32_f16_e32 v11, v22
	v_lshlrev_b32_e32 v18, v21, v32
	v_add_nc_u32_e32 v15, 0xfffffc10, v15
	s_or_b32 s0, s1, s0
	v_mul_f64 v[0:1], v[0:1], s[4:5]
	v_add_co_ci_u32_e64 v2, s0, 0, v2, s0
	v_cmp_ne_u32_e64 s0, v18, v20
	v_cvt_f64_f32_e32 v[11:12], v11
	v_lshl_or_b32 v20, v15, 12, v14
	v_cndmask_b32_e64 v18, 0, 1, s0
	v_cmp_ne_u32_e64 s0, 0, v6
	v_or_b32_e32 v18, v32, v18
	v_cndmask_b32_e64 v6, 0, 1, s0
	v_cmp_gt_i32_e64 s0, 31, v13
	v_lshl_or_b32 v6, v6, 9, 0x7c00
	v_cndmask_b32_e64 v2, 0x7c00, v2, s0
	v_cmp_gt_i32_e64 s0, 1, v15
	v_and_or_b32 v0, 0x1ff, v1, v0
	v_cndmask_b32_e64 v16, v20, v18, s0
	v_cmp_eq_u32_e64 s0, 0x40f, v13
	v_lshrrev_b32_e32 v18, 16, v7
	v_and_b32_e32 v20, 7, v16
	v_cndmask_b32_e64 v13, v2, v6, s0
	v_mul_f64 v[6:7], v[11:12], s[4:5]
	v_cvt_f64_f32_e32 v[2:3], v3
	v_cmp_ne_u32_e64 s0, 0, v0
	v_lshrrev_b32_e32 v11, 8, v1
	v_bfe_u32 v12, v1, 20, 11
	v_cmp_eq_u32_e64 s1, 3, v20
	v_lshrrev_b32_e32 v16, 2, v16
	v_cndmask_b32_e64 v0, 0, 1, s0
	v_cmp_lt_i32_e64 s0, 5, v20
	v_and_or_b32 v13, 0x8000, v18, v13
	v_and_b32_e32 v18, 0xffff, v23
	v_lshrrev_b32_e32 v1, 16, v1
	v_and_or_b32 v0, 0xffe, v11, v0
	v_sub_nc_u32_e32 v11, 0x3f1, v12
	s_or_b32 s0, s1, s0
	v_lshl_or_b32 v13, v13, 16, v18
	v_add_co_ci_u32_e64 v16, s0, 0, v16, s0
	v_or_b32_e32 v18, 0x1000, v0
	v_med3_i32 v11, v11, 0, 13
	v_cmp_ne_u32_e64 s0, 0, v14
	v_add_nc_u32_e32 v12, 0xfffffc10, v12
	v_and_or_b32 v6, 0x1ff, v7, v6
	v_mul_f64 v[2:3], v[2:3], s[4:5]
	v_lshrrev_b32_e32 v20, v11, v18
	v_cndmask_b32_e64 v14, 0, 1, s0
	v_cmp_gt_i32_e64 s0, 31, v15
	v_lshrrev_b32_e32 v21, 8, v7
	v_bfe_u32 v22, v7, 20, 11
	v_lshlrev_b32_e32 v11, v11, v20
	v_lshl_or_b32 v14, v14, 9, 0x7c00
	v_cndmask_b32_e64 v16, 0x7c00, v16, s0
	v_cmp_ne_u32_e64 s0, 0, v6
	v_lshrrev_b32_e32 v7, 16, v7
	v_cndmask_b32_e64 v6, 0, 1, s0
	v_cmp_ne_u32_e64 s0, v11, v18
	v_sub_nc_u32_e32 v18, 0x3f1, v22
	v_and_or_b32 v6, 0xffe, v21, v6
	v_cndmask_b32_e64 v11, 0, 1, s0
	v_cmp_eq_u32_e64 s0, 0x40f, v15
	v_lshl_or_b32 v15, v12, 12, v0
	v_med3_i32 v18, v18, 0, 13
	v_and_or_b32 v2, 0x1ff, v3, v2
	v_or_b32_e32 v11, v20, v11
	v_cndmask_b32_e64 v14, v16, v14, s0
	v_or_b32_e32 v16, 0x1000, v6
	v_cmp_gt_i32_e64 s0, 1, v12
	v_lshrrev_b32_e32 v20, 8, v3
	v_bfe_u32 v21, v3, 20, 11
	v_and_or_b32 v10, 0x8000, v10, v14
	v_cndmask_b32_e64 v11, v15, v11, s0
	v_lshrrev_b32_e32 v15, v18, v16
	v_cmp_ne_u32_e64 s0, 0, v2
	v_sub_nc_u32_e32 v14, 0x3f1, v21
	v_and_b32_e32 v23, 7, v11
	v_lshlrev_b32_e32 v18, v18, v15
	v_cndmask_b32_e64 v2, 0, 1, s0
	v_lshrrev_b32_e32 v11, 2, v11
	v_med3_i32 v14, v14, 0, 13
	v_cmp_lt_i32_e64 s0, 5, v23
	v_cmp_ne_u32_e64 s1, v18, v16
	v_and_or_b32 v2, 0xffe, v20, v2
	v_add_nc_u32_e32 v20, 0xfffffc10, v22
	v_cndmask_b32_e64 v16, 0, 1, s1
	v_cmp_eq_u32_e64 s1, 3, v23
	v_or_b32_e32 v18, 0x1000, v2
	v_lshl_or_b32 v22, v20, 12, v6
	v_or_b32_e32 v15, v15, v16
	s_or_b32 s0, s1, s0
	v_lshrrev_b32_e32 v16, v14, v18
	v_add_co_ci_u32_e64 v11, s0, 0, v11, s0
	v_cmp_gt_i32_e64 s0, 1, v20
	v_lshlrev_b32_e32 v14, v14, v16
	v_cndmask_b32_e64 v15, v22, v15, s0
	v_cmp_ne_u32_e64 s0, 0, v0
	v_cndmask_b32_e64 v0, 0, 1, s0
	v_cmp_ne_u32_e64 s0, v14, v18
	v_add_nc_u32_e32 v18, 0xfffffc10, v21
	v_and_b32_e32 v21, 7, v15
	v_lshl_or_b32 v0, v0, 9, 0x7c00
	v_cndmask_b32_e64 v14, 0, 1, s0
	v_cmp_gt_i32_e64 s0, 31, v12
	v_cmp_gt_i32_e64 s2, 1, v18
	v_cmp_eq_u32_e64 s1, 3, v21
	v_or_b32_e32 v14, v16, v14
	v_lshl_or_b32 v16, v18, 12, v2
	v_cndmask_b32_e64 v11, 0x7c00, v11, s0
	v_cmp_lt_i32_e64 s0, 5, v21
	v_cndmask_b32_e64 v14, v16, v14, s2
	v_cmp_eq_u32_e64 s2, 0x40f, v12
	s_or_b32 s0, s1, s0
	v_and_b32_e32 v12, 7, v14
	v_cndmask_b32_e64 v0, v11, v0, s2
	v_lshrrev_b32_e32 v11, 2, v15
	v_cmp_gt_i32_e64 s2, 31, v20
	v_cmp_eq_u32_e64 s1, 3, v12
	v_and_or_b32 v0, 0x8000, v1, v0
	v_add_co_ci_u32_e64 v11, s0, 0, v11, s0
	v_cmp_ne_u32_e64 s0, 0, v6
	v_and_b32_e32 v1, 0xffff, v10
	v_lshrrev_b32_e32 v10, 16, v3
	v_cndmask_b32_e64 v11, 0x7c00, v11, s2
	v_cndmask_b32_e64 v6, 0, 1, s0
	v_cmp_lt_i32_e64 s0, 5, v12
	v_lshrrev_b32_e32 v12, 2, v14
	v_lshl_or_b32 v6, v6, 9, 0x7c00
	s_or_b32 s0, s1, s0
	v_add_co_ci_u32_e64 v12, s0, 0, v12, s0
	v_cmp_ne_u32_e64 s0, 0, v2
	v_cndmask_b32_e64 v2, 0, 1, s0
	v_cmp_eq_u32_e64 s0, 0x40f, v20
	v_lshl_or_b32 v2, v2, 9, 0x7c00
	v_cndmask_b32_e64 v6, v11, v6, s0
	v_cmp_gt_i32_e64 s0, 31, v18
	v_and_or_b32 v6, 0x8000, v7, v6
	v_cndmask_b32_e64 v11, 0x7c00, v12, s0
	v_cmp_eq_u32_e64 s0, 0x40f, v18
	v_cndmask_b32_e64 v7, v11, v2, s0
	v_add_co_u32 v2, s0, v8, s16
	v_add_co_ci_u32_e64 v3, s0, s17, v9, s0
	v_lshl_or_b32 v11, v0, 16, v1
	v_and_or_b32 v0, 0x8000, v10, v7
	v_and_b32_e32 v1, 0xffff, v6
	v_add_co_u32 v6, s0, v2, s16
	v_add_co_ci_u32_e64 v7, s0, s17, v3, s0
	v_lshl_or_b32 v10, v0, 16, v1
	v_add_co_u32 v0, s0, v6, s16
	v_add_co_ci_u32_e64 v1, s0, s17, v7, s0
	global_store_dword v[4:5], v19, off
	global_store_dword v[8:9], v17, off
	;; [unrolled: 1-line block ×5, first 2 shown]
	s_and_b32 exec_lo, exec_lo, vcc_lo
	s_cbranch_execz .LBB0_25
; %bb.24:
	s_clause 0x3
	global_load_dword v2, v[28:29], off offset:1920
	global_load_dword v3, v[30:31], off offset:224
	;; [unrolled: 1-line block ×4, first 2 shown]
	ds_read_b32 v4, v41 offset:1920
	ds_read_b32 v5, v41 offset:4320
	;; [unrolled: 1-line block ×4, first 2 shown]
	v_add_co_u32 v0, vcc_lo, v0, s6
	v_add_co_ci_u32_e32 v1, vcc_lo, s7, v1, vcc_lo
	v_add_co_u32 v18, vcc_lo, v0, s16
	v_add_co_ci_u32_e32 v19, vcc_lo, s17, v1, vcc_lo
	;; [unrolled: 2-line block ×3, first 2 shown]
	s_waitcnt lgkmcnt(3)
	v_lshrrev_b32_e32 v8, 16, v4
	s_waitcnt lgkmcnt(2)
	v_lshrrev_b32_e32 v9, 16, v5
	;; [unrolled: 2-line block ×4, first 2 shown]
	s_waitcnt vmcnt(3)
	v_mul_f16_sdwa v12, v8, v2 dst_sel:DWORD dst_unused:UNUSED_PAD src0_sel:DWORD src1_sel:WORD_1
	v_mul_f16_sdwa v15, v4, v2 dst_sel:DWORD dst_unused:UNUSED_PAD src0_sel:DWORD src1_sel:WORD_1
	s_waitcnt vmcnt(2)
	v_mul_f16_sdwa v16, v9, v3 dst_sel:DWORD dst_unused:UNUSED_PAD src0_sel:DWORD src1_sel:WORD_1
	s_waitcnt vmcnt(1)
	v_mul_f16_sdwa v17, v13, v6 dst_sel:DWORD dst_unused:UNUSED_PAD src0_sel:DWORD src1_sel:WORD_1
	v_fmac_f16_e32 v12, v4, v2
	v_mul_f16_sdwa v4, v5, v3 dst_sel:DWORD dst_unused:UNUSED_PAD src0_sel:DWORD src1_sel:WORD_1
	v_fma_f16 v2, v2, v8, -v15
	v_fmac_f16_e32 v16, v5, v3
	v_mul_f16_sdwa v8, v7, v6 dst_sel:DWORD dst_unused:UNUSED_PAD src0_sel:DWORD src1_sel:WORD_1
	v_cvt_f32_f16_e32 v12, v12
	v_fma_f16 v9, v3, v9, -v4
	v_cvt_f32_f16_e32 v5, v2
	v_fmac_f16_e32 v17, v7, v6
	v_cvt_f32_f16_e32 v7, v16
	v_cvt_f64_f32_e32 v[2:3], v12
	v_cvt_f32_f16_e32 v9, v9
	v_cvt_f64_f32_e32 v[4:5], v5
	v_fma_f16 v13, v6, v13, -v8
	v_cvt_f64_f32_e32 v[6:7], v7
	s_waitcnt vmcnt(0)
	v_mul_f16_sdwa v15, v14, v10 dst_sel:DWORD dst_unused:UNUSED_PAD src0_sel:DWORD src1_sel:WORD_1
	v_mul_f16_sdwa v12, v11, v10 dst_sel:DWORD dst_unused:UNUSED_PAD src0_sel:DWORD src1_sel:WORD_1
	v_cvt_f32_f16_e32 v16, v17
	v_cvt_f64_f32_e32 v[8:9], v9
	v_cvt_f32_f16_e32 v13, v13
	v_fmac_f16_e32 v15, v11, v10
	v_fma_f16 v12, v10, v14, -v12
	v_cvt_f64_f32_e32 v[10:11], v16
	v_cvt_f32_f16_e32 v14, v15
	v_cvt_f32_f16_e32 v16, v12
	v_cvt_f64_f32_e32 v[12:13], v13
	v_cvt_f64_f32_e32 v[14:15], v14
	v_cvt_f64_f32_e32 v[16:17], v16
	v_mul_f64 v[2:3], v[2:3], s[4:5]
	v_mul_f64 v[4:5], v[4:5], s[4:5]
	v_mul_f64 v[6:7], v[6:7], s[4:5]
	v_mul_f64 v[8:9], v[8:9], s[4:5]
	v_mul_f64 v[10:11], v[10:11], s[4:5]
	v_mul_f64 v[12:13], v[12:13], s[4:5]
	v_mul_f64 v[14:15], v[14:15], s[4:5]
	v_mul_f64 v[16:17], v[16:17], s[4:5]
	v_and_or_b32 v2, 0x1ff, v3, v2
	v_lshrrev_b32_e32 v22, 8, v3
	v_and_or_b32 v4, 0x1ff, v5, v4
	v_bfe_u32 v23, v3, 20, 11
	v_and_or_b32 v6, 0x1ff, v7, v6
	v_cmp_ne_u32_e32 vcc_lo, 0, v2
	v_lshrrev_b32_e32 v24, 8, v5
	v_bfe_u32 v25, v5, 20, 11
	v_and_or_b32 v8, 0x1ff, v9, v8
	v_lshrrev_b32_e32 v26, 8, v7
	v_cndmask_b32_e64 v2, 0, 1, vcc_lo
	v_cmp_ne_u32_e32 vcc_lo, 0, v4
	v_and_or_b32 v10, 0x1ff, v11, v10
	v_bfe_u32 v27, v7, 20, 11
	v_bfe_u32 v29, v9, 20, 11
	v_and_or_b32 v2, 0xffe, v22, v2
	v_cndmask_b32_e64 v4, 0, 1, vcc_lo
	v_cmp_ne_u32_e32 vcc_lo, 0, v6
	v_and_or_b32 v12, 0x1ff, v13, v12
	v_sub_nc_u32_e32 v38, 0x3f1, v23
	v_and_or_b32 v14, 0x1ff, v15, v14
	v_and_or_b32 v16, 0x1ff, v17, v16
	v_cndmask_b32_e64 v6, 0, 1, vcc_lo
	v_cmp_ne_u32_e32 vcc_lo, 0, v8
	v_add_nc_u32_e32 v23, 0xfffffc10, v23
	v_sub_nc_u32_e32 v39, 0x3f1, v25
	v_and_or_b32 v4, 0xffe, v24, v4
	v_lshrrev_b32_e32 v28, 8, v9
	v_cndmask_b32_e64 v8, 0, 1, vcc_lo
	v_cmp_ne_u32_e32 vcc_lo, 0, v10
	v_bfe_u32 v31, v11, 20, 11
	v_bfe_u32 v33, v13, 20, 11
	v_add_nc_u32_e32 v25, 0xfffffc10, v25
	v_sub_nc_u32_e32 v40, 0x3f1, v27
	v_cndmask_b32_e64 v10, 0, 1, vcc_lo
	v_cmp_ne_u32_e32 vcc_lo, 0, v12
	v_sub_nc_u32_e32 v41, 0x3f1, v29
	v_med3_i32 v22, v38, 0, 13
	v_med3_i32 v24, v39, 0, 13
	v_and_or_b32 v6, 0xffe, v26, v6
	v_cndmask_b32_e64 v12, 0, 1, vcc_lo
	v_cmp_ne_u32_e32 vcc_lo, 0, v14
	v_or_b32_e32 v38, 0x1000, v2
	v_lshl_or_b32 v39, v23, 12, v2
	v_lshrrev_b32_e32 v30, 8, v11
	v_lshrrev_b32_e32 v32, 8, v13
	v_cndmask_b32_e64 v14, 0, 1, vcc_lo
	v_cmp_ne_u32_e32 vcc_lo, 0, v16
	v_bfe_u32 v35, v15, 20, 11
	v_bfe_u32 v37, v17, 20, 11
	v_add_nc_u32_e32 v27, 0xfffffc10, v27
	v_sub_nc_u32_e32 v42, 0x3f1, v31
	v_cndmask_b32_e64 v16, 0, 1, vcc_lo
	v_cmp_ne_u32_e32 vcc_lo, 0, v2
	v_sub_nc_u32_e32 v43, 0x3f1, v33
	v_med3_i32 v26, v40, 0, 13
	v_and_or_b32 v8, 0xffe, v28, v8
	v_med3_i32 v28, v41, 0, 13
	v_cndmask_b32_e64 v2, 0, 1, vcc_lo
	v_cmp_ne_u32_e32 vcc_lo, 0, v4
	v_or_b32_e32 v40, 0x1000, v4
	v_lshl_or_b32 v41, v25, 12, v4
	v_lshrrev_b32_e32 v34, 8, v15
	v_lshrrev_b32_e32 v36, 8, v17
	v_cndmask_b32_e64 v4, 0, 1, vcc_lo
	v_cmp_ne_u32_e32 vcc_lo, 0, v6
	v_add_nc_u32_e32 v29, 0xfffffc10, v29
	v_sub_nc_u32_e32 v44, 0x3f1, v35
	v_sub_nc_u32_e32 v45, 0x3f1, v37
	v_and_or_b32 v10, 0xffe, v30, v10
	v_med3_i32 v30, v42, 0, 13
	v_and_or_b32 v12, 0xffe, v32, v12
	v_med3_i32 v32, v43, 0, 13
	v_or_b32_e32 v42, 0x1000, v6
	v_lshl_or_b32 v43, v27, 12, v6
	v_cndmask_b32_e64 v6, 0, 1, vcc_lo
	v_cmp_ne_u32_e32 vcc_lo, 0, v8
	v_add_nc_u32_e32 v31, 0xfffffc10, v31
	v_and_or_b32 v14, 0xffe, v34, v14
	v_med3_i32 v34, v44, 0, 13
	v_and_or_b32 v16, 0xffe, v36, v16
	v_med3_i32 v36, v45, 0, 13
	v_or_b32_e32 v44, 0x1000, v8
	v_lshl_or_b32 v45, v29, 12, v8
	v_cndmask_b32_e64 v8, 0, 1, vcc_lo
	v_cmp_ne_u32_e32 vcc_lo, 0, v10
	v_add_nc_u32_e32 v33, 0xfffffc10, v33
	v_or_b32_e32 v46, 0x1000, v10
	v_lshl_or_b32 v47, v31, 12, v10
	v_add_nc_u32_e32 v35, 0xfffffc10, v35
	v_cndmask_b32_e64 v10, 0, 1, vcc_lo
	v_cmp_ne_u32_e32 vcc_lo, 0, v12
	v_or_b32_e32 v48, 0x1000, v12
	v_lshl_or_b32 v49, v33, 12, v12
	v_lshrrev_b32_e32 v54, v22, v38
	v_add_nc_u32_e32 v37, 0xfffffc10, v37
	v_cndmask_b32_e64 v12, 0, 1, vcc_lo
	v_cmp_ne_u32_e32 vcc_lo, 0, v14
	v_or_b32_e32 v50, 0x1000, v14
	v_lshl_or_b32 v51, v35, 12, v14
	v_lshrrev_b32_e32 v55, v24, v40
	v_lshlrev_b32_e32 v22, v22, v54
	v_cndmask_b32_e64 v14, 0, 1, vcc_lo
	v_cmp_ne_u32_e32 vcc_lo, 0, v16
	v_or_b32_e32 v52, 0x1000, v16
	v_lshl_or_b32 v53, v37, 12, v16
	v_lshrrev_b32_e32 v56, v26, v42
	v_lshlrev_b32_e32 v24, v24, v55
	v_cndmask_b32_e64 v16, 0, 1, vcc_lo
	v_cmp_ne_u32_e32 vcc_lo, v22, v38
	v_lshrrev_b32_e32 v57, v28, v44
	v_lshlrev_b32_e32 v26, v26, v56
	v_lshrrev_b32_e32 v58, v30, v46
	v_lshrrev_b32_e32 v59, v32, v48
	v_cndmask_b32_e64 v22, 0, 1, vcc_lo
	v_cmp_ne_u32_e32 vcc_lo, v24, v40
	v_lshlrev_b32_e32 v28, v28, v57
	v_lshlrev_b32_e32 v30, v30, v58
	v_lshrrev_b32_e32 v60, v34, v50
	v_lshlrev_b32_e32 v32, v32, v59
	v_cndmask_b32_e64 v24, 0, 1, vcc_lo
	v_cmp_ne_u32_e32 vcc_lo, v26, v42
	v_lshrrev_b32_e32 v61, v36, v52
	v_lshlrev_b32_e32 v34, v34, v60
	v_or_b32_e32 v22, v54, v22
	v_or_b32_e32 v24, v55, v24
	v_cndmask_b32_e64 v26, 0, 1, vcc_lo
	v_cmp_ne_u32_e32 vcc_lo, v28, v44
	v_lshlrev_b32_e32 v36, v36, v61
	v_lshl_or_b32 v2, v2, 9, 0x7c00
	v_lshl_or_b32 v4, v4, 9, 0x7c00
	v_or_b32_e32 v26, v56, v26
	v_cndmask_b32_e64 v28, 0, 1, vcc_lo
	v_cmp_ne_u32_e32 vcc_lo, v30, v46
	v_lshl_or_b32 v6, v6, 9, 0x7c00
	v_lshl_or_b32 v8, v8, 9, 0x7c00
	;; [unrolled: 1-line block ×3, first 2 shown]
	v_or_b32_e32 v28, v57, v28
	v_cndmask_b32_e64 v30, 0, 1, vcc_lo
	v_cmp_ne_u32_e32 vcc_lo, v32, v48
	v_lshl_or_b32 v12, v12, 9, 0x7c00
	v_lshl_or_b32 v14, v14, 9, 0x7c00
	v_lshrrev_b32_e32 v3, 16, v3
	v_or_b32_e32 v30, v58, v30
	v_cndmask_b32_e64 v32, 0, 1, vcc_lo
	v_cmp_ne_u32_e32 vcc_lo, v34, v50
	v_lshrrev_b32_e32 v7, 16, v7
	v_lshrrev_b32_e32 v11, 16, v11
	;; [unrolled: 1-line block ×3, first 2 shown]
	v_or_b32_e32 v32, v59, v32
	v_cndmask_b32_e64 v34, 0, 1, vcc_lo
	v_cmp_ne_u32_e32 vcc_lo, v36, v52
	v_lshrrev_b32_e32 v9, 16, v9
	v_lshrrev_b32_e32 v15, 16, v15
	v_lshl_or_b32 v16, v16, 9, 0x7c00
	v_or_b32_e32 v34, v60, v34
	v_cndmask_b32_e64 v36, 0, 1, vcc_lo
	v_cmp_gt_i32_e32 vcc_lo, 1, v23
	v_lshrrev_b32_e32 v13, 16, v13
	v_lshrrev_b32_e32 v17, 16, v17
	v_or_b32_e32 v36, v61, v36
	v_cndmask_b32_e32 v22, v39, v22, vcc_lo
	v_cmp_gt_i32_e32 vcc_lo, 1, v25
	v_and_b32_e32 v38, 7, v22
	v_cndmask_b32_e32 v24, v41, v24, vcc_lo
	v_cmp_gt_i32_e32 vcc_lo, 1, v27
	v_lshrrev_b32_e32 v22, 2, v22
	v_cmp_eq_u32_e64 s0, 3, v38
	v_and_b32_e32 v39, 7, v24
	v_cndmask_b32_e32 v26, v43, v26, vcc_lo
	v_cmp_gt_i32_e32 vcc_lo, 1, v29
	v_lshrrev_b32_e32 v24, 2, v24
	v_cmp_lt_i32_e64 s1, 5, v39
	v_and_b32_e32 v40, 7, v26
	v_cndmask_b32_e32 v28, v45, v28, vcc_lo
	v_cmp_gt_i32_e32 vcc_lo, 1, v31
	v_cmp_eq_u32_e64 s2, 3, v39
	v_lshrrev_b32_e32 v26, 2, v26
	v_cmp_lt_i32_e64 s3, 5, v40
	v_and_b32_e32 v41, 7, v28
	v_cndmask_b32_e32 v30, v47, v30, vcc_lo
	v_cmp_gt_i32_e32 vcc_lo, 1, v33
	v_cmp_eq_u32_e64 s4, 3, v40
	;; [unrolled: 6-line block ×4, first 2 shown]
	v_lshrrev_b32_e32 v32, 2, v32
	v_cmp_lt_i32_e64 s9, 5, v43
	v_and_b32_e32 v44, 7, v34
	v_cndmask_b32_e32 v36, v53, v36, vcc_lo
	v_cmp_lt_i32_e32 vcc_lo, 5, v38
	v_cmp_eq_u32_e64 s10, 3, v43
	v_lshrrev_b32_e32 v34, 2, v34
	v_cmp_lt_i32_e64 s11, 5, v44
	v_and_b32_e32 v45, 7, v36
	s_or_b32 vcc_lo, s0, vcc_lo
	v_cmp_eq_u32_e64 s12, 3, v44
	v_add_co_ci_u32_e32 v22, vcc_lo, 0, v22, vcc_lo
	s_or_b32 vcc_lo, s2, s1
	v_cmp_lt_i32_e64 s13, 5, v45
	v_add_co_ci_u32_e32 v24, vcc_lo, 0, v24, vcc_lo
	s_or_b32 vcc_lo, s4, s3
	v_cmp_eq_u32_e64 s14, 3, v45
	v_add_co_ci_u32_e32 v26, vcc_lo, 0, v26, vcc_lo
	s_or_b32 vcc_lo, s6, s5
	v_lshrrev_b32_e32 v36, 2, v36
	v_add_co_ci_u32_e32 v28, vcc_lo, 0, v28, vcc_lo
	s_or_b32 vcc_lo, s8, s7
	v_add_co_ci_u32_e32 v30, vcc_lo, 0, v30, vcc_lo
	s_or_b32 vcc_lo, s10, s9
	;; [unrolled: 2-line block ×4, first 2 shown]
	v_add_co_ci_u32_e32 v36, vcc_lo, 0, v36, vcc_lo
	v_cmp_gt_i32_e32 vcc_lo, 31, v23
	v_cndmask_b32_e32 v22, 0x7c00, v22, vcc_lo
	v_cmp_gt_i32_e32 vcc_lo, 31, v25
	v_cndmask_b32_e32 v24, 0x7c00, v24, vcc_lo
	;; [unrolled: 2-line block ×8, first 2 shown]
	v_cmp_eq_u32_e32 vcc_lo, 0x40f, v23
	v_cndmask_b32_e32 v2, v22, v2, vcc_lo
	v_cmp_eq_u32_e32 vcc_lo, 0x40f, v25
	v_and_or_b32 v2, 0x8000, v3, v2
	v_cndmask_b32_e32 v4, v24, v4, vcc_lo
	v_cmp_eq_u32_e32 vcc_lo, 0x40f, v27
	v_and_or_b32 v4, 0x8000, v5, v4
	;; [unrolled: 3-line block ×5, first 2 shown]
	v_cndmask_b32_e32 v12, v32, v12, vcc_lo
	v_cmp_eq_u32_e32 vcc_lo, 0x40f, v35
	v_and_b32_e32 v10, 0xffff, v2
	v_and_b32_e32 v11, 0xffff, v3
	;; [unrolled: 1-line block ×3, first 2 shown]
	v_and_or_b32 v7, 0x8000, v13, v12
	v_cndmask_b32_e32 v14, v34, v14, vcc_lo
	v_cmp_eq_u32_e32 vcc_lo, 0x40f, v37
	v_lshl_or_b32 v4, v4, 16, v10
	v_lshl_or_b32 v5, v5, 16, v11
	;; [unrolled: 1-line block ×3, first 2 shown]
	v_and_or_b32 v8, 0x8000, v15, v14
	v_cndmask_b32_e32 v16, v36, v16, vcc_lo
	v_add_co_u32 v2, vcc_lo, v20, s16
	v_add_co_ci_u32_e32 v3, vcc_lo, s17, v21, vcc_lo
	v_and_or_b32 v9, 0x8000, v17, v16
	v_and_b32_e32 v8, 0xffff, v8
	v_lshl_or_b32 v7, v9, 16, v8
	global_store_dword v[0:1], v4, off
	global_store_dword v[18:19], v5, off
	;; [unrolled: 1-line block ×4, first 2 shown]
.LBB0_25:
	s_endpgm
	.section	.rodata,"a",@progbits
	.p2align	6, 0x0
	.amdhsa_kernel bluestein_single_back_len2400_dim1_half_op_CI_CI
		.amdhsa_group_segment_fixed_size 9600
		.amdhsa_private_segment_fixed_size 0
		.amdhsa_kernarg_size 104
		.amdhsa_user_sgpr_count 6
		.amdhsa_user_sgpr_private_segment_buffer 1
		.amdhsa_user_sgpr_dispatch_ptr 0
		.amdhsa_user_sgpr_queue_ptr 0
		.amdhsa_user_sgpr_kernarg_segment_ptr 1
		.amdhsa_user_sgpr_dispatch_id 0
		.amdhsa_user_sgpr_flat_scratch_init 0
		.amdhsa_user_sgpr_private_segment_size 0
		.amdhsa_wavefront_size32 1
		.amdhsa_uses_dynamic_stack 0
		.amdhsa_system_sgpr_private_segment_wavefront_offset 0
		.amdhsa_system_sgpr_workgroup_id_x 1
		.amdhsa_system_sgpr_workgroup_id_y 0
		.amdhsa_system_sgpr_workgroup_id_z 0
		.amdhsa_system_sgpr_workgroup_info 0
		.amdhsa_system_vgpr_workitem_id 0
		.amdhsa_next_free_vgpr 98
		.amdhsa_next_free_sgpr 18
		.amdhsa_reserve_vcc 1
		.amdhsa_reserve_flat_scratch 0
		.amdhsa_float_round_mode_32 0
		.amdhsa_float_round_mode_16_64 0
		.amdhsa_float_denorm_mode_32 3
		.amdhsa_float_denorm_mode_16_64 3
		.amdhsa_dx10_clamp 1
		.amdhsa_ieee_mode 1
		.amdhsa_fp16_overflow 0
		.amdhsa_workgroup_processor_mode 1
		.amdhsa_memory_ordered 1
		.amdhsa_forward_progress 0
		.amdhsa_shared_vgpr_count 0
		.amdhsa_exception_fp_ieee_invalid_op 0
		.amdhsa_exception_fp_denorm_src 0
		.amdhsa_exception_fp_ieee_div_zero 0
		.amdhsa_exception_fp_ieee_overflow 0
		.amdhsa_exception_fp_ieee_underflow 0
		.amdhsa_exception_fp_ieee_inexact 0
		.amdhsa_exception_int_div_zero 0
	.end_amdhsa_kernel
	.text
.Lfunc_end0:
	.size	bluestein_single_back_len2400_dim1_half_op_CI_CI, .Lfunc_end0-bluestein_single_back_len2400_dim1_half_op_CI_CI
                                        ; -- End function
	.section	.AMDGPU.csdata,"",@progbits
; Kernel info:
; codeLenInByte = 19040
; NumSgprs: 20
; NumVgprs: 98
; ScratchSize: 0
; MemoryBound: 0
; FloatMode: 240
; IeeeMode: 1
; LDSByteSize: 9600 bytes/workgroup (compile time only)
; SGPRBlocks: 2
; VGPRBlocks: 12
; NumSGPRsForWavesPerEU: 20
; NumVGPRsForWavesPerEU: 98
; Occupancy: 9
; WaveLimiterHint : 1
; COMPUTE_PGM_RSRC2:SCRATCH_EN: 0
; COMPUTE_PGM_RSRC2:USER_SGPR: 6
; COMPUTE_PGM_RSRC2:TRAP_HANDLER: 0
; COMPUTE_PGM_RSRC2:TGID_X_EN: 1
; COMPUTE_PGM_RSRC2:TGID_Y_EN: 0
; COMPUTE_PGM_RSRC2:TGID_Z_EN: 0
; COMPUTE_PGM_RSRC2:TIDIG_COMP_CNT: 0
	.text
	.p2alignl 6, 3214868480
	.fill 48, 4, 3214868480
	.type	__hip_cuid_f2e4614710181102,@object ; @__hip_cuid_f2e4614710181102
	.section	.bss,"aw",@nobits
	.globl	__hip_cuid_f2e4614710181102
__hip_cuid_f2e4614710181102:
	.byte	0                               ; 0x0
	.size	__hip_cuid_f2e4614710181102, 1

	.ident	"AMD clang version 19.0.0git (https://github.com/RadeonOpenCompute/llvm-project roc-6.4.0 25133 c7fe45cf4b819c5991fe208aaa96edf142730f1d)"
	.section	".note.GNU-stack","",@progbits
	.addrsig
	.addrsig_sym __hip_cuid_f2e4614710181102
	.amdgpu_metadata
---
amdhsa.kernels:
  - .args:
      - .actual_access:  read_only
        .address_space:  global
        .offset:         0
        .size:           8
        .value_kind:     global_buffer
      - .actual_access:  read_only
        .address_space:  global
        .offset:         8
        .size:           8
        .value_kind:     global_buffer
      - .actual_access:  read_only
        .address_space:  global
        .offset:         16
        .size:           8
        .value_kind:     global_buffer
      - .actual_access:  read_only
        .address_space:  global
        .offset:         24
        .size:           8
        .value_kind:     global_buffer
      - .actual_access:  read_only
        .address_space:  global
        .offset:         32
        .size:           8
        .value_kind:     global_buffer
      - .offset:         40
        .size:           8
        .value_kind:     by_value
      - .address_space:  global
        .offset:         48
        .size:           8
        .value_kind:     global_buffer
      - .address_space:  global
        .offset:         56
        .size:           8
        .value_kind:     global_buffer
      - .address_space:  global
        .offset:         64
        .size:           8
        .value_kind:     global_buffer
      - .address_space:  global
        .offset:         72
        .size:           8
        .value_kind:     global_buffer
      - .offset:         80
        .size:           4
        .value_kind:     by_value
      - .address_space:  global
        .offset:         88
        .size:           8
        .value_kind:     global_buffer
      - .address_space:  global
        .offset:         96
        .size:           8
        .value_kind:     global_buffer
    .group_segment_fixed_size: 9600
    .kernarg_segment_align: 8
    .kernarg_segment_size: 104
    .language:       OpenCL C
    .language_version:
      - 2
      - 0
    .max_flat_workgroup_size: 240
    .name:           bluestein_single_back_len2400_dim1_half_op_CI_CI
    .private_segment_fixed_size: 0
    .sgpr_count:     20
    .sgpr_spill_count: 0
    .symbol:         bluestein_single_back_len2400_dim1_half_op_CI_CI.kd
    .uniform_work_group_size: 1
    .uses_dynamic_stack: false
    .vgpr_count:     98
    .vgpr_spill_count: 0
    .wavefront_size: 32
    .workgroup_processor_mode: 1
amdhsa.target:   amdgcn-amd-amdhsa--gfx1030
amdhsa.version:
  - 1
  - 2
...

	.end_amdgpu_metadata
